;; amdgpu-corpus repo=ROCm/rocBLAS kind=compiled arch=gfx1030 opt=O3
	.amdgcn_target "amdgcn-amd-amdhsa--gfx1030"
	.amdhsa_code_object_version 6
	.section	.text._ZL20rocblas_hbmvn_kernelILi64ELi16EPK19rocblas_complex_numIfES3_PS1_EvbiiT1_T2_lllS6_lllS5_T3_llli,"axG",@progbits,_ZL20rocblas_hbmvn_kernelILi64ELi16EPK19rocblas_complex_numIfES3_PS1_EvbiiT1_T2_lllS6_lllS5_T3_llli,comdat
	.globl	_ZL20rocblas_hbmvn_kernelILi64ELi16EPK19rocblas_complex_numIfES3_PS1_EvbiiT1_T2_lllS6_lllS5_T3_llli ; -- Begin function _ZL20rocblas_hbmvn_kernelILi64ELi16EPK19rocblas_complex_numIfES3_PS1_EvbiiT1_T2_lllS6_lllS5_T3_llli
	.p2align	8
	.type	_ZL20rocblas_hbmvn_kernelILi64ELi16EPK19rocblas_complex_numIfES3_PS1_EvbiiT1_T2_lllS6_lllS5_T3_llli,@function
_ZL20rocblas_hbmvn_kernelILi64ELi16EPK19rocblas_complex_numIfES3_PS1_EvbiiT1_T2_lllS6_lllS5_T3_llli: ; @_ZL20rocblas_hbmvn_kernelILi64ELi16EPK19rocblas_complex_numIfES3_PS1_EvbiiT1_T2_lllS6_lllS5_T3_llli
; %bb.0:
	s_load_dwordx2 s[0:1], s[4:5], 0x94
	s_waitcnt lgkmcnt(0)
	s_lshr_b32 s2, s0, 16
	s_and_b32 s0, s0, 0xffff
	s_and_b32 s1, s1, 0xffff
	s_mul_i32 s2, s2, s0
	s_mul_i32 s2, s2, s1
	s_cmpk_lg_i32 s2, 0x400
	s_cbranch_scc1 .LBB0_48
; %bb.1:
	s_clause 0x1
	s_load_dwordx16 s[8:23], s[4:5], 0x10
	s_load_dwordx8 s[24:31], s[4:5], 0x50
	s_waitcnt lgkmcnt(0)
	s_load_dwordx2 s[34:35], s[8:9], 0x0
	s_load_dwordx2 s[8:9], s[26:27], 0x0
	s_waitcnt lgkmcnt(0)
	v_cmp_neq_f32_e64 s1, s34, 0
	v_cmp_neq_f32_e64 s2, s35, 0
	s_or_b32 s1, s1, s2
	s_and_b32 vcc_lo, exec_lo, s1
	s_mov_b32 s1, -1
	s_cbranch_vccnz .LBB0_3
; %bb.2:
	v_cmp_neq_f32_e64 s1, s8, 1.0
	v_cmp_neq_f32_e64 s2, s9, 0
	s_or_b32 s1, s1, s2
.LBB0_3:
	s_andn2_b32 vcc_lo, exec_lo, s1
	s_cbranch_vccnz .LBB0_48
; %bb.4:
	s_clause 0x1
	s_load_dwordx4 s[36:39], s[4:5], 0x70
	s_load_dwordx4 s[40:43], s[4:5], 0x0
	s_or_b32 s1, s34, s35
	v_mad_u32_u24 v12, v1, s0, v0
	s_bitset0_b32 s1, 31
	s_cmp_eq_u32 s1, 0
	s_cselect_b32 s26, -1, 0
	s_and_b32 vcc_lo, exec_lo, s26
	s_cbranch_vccnz .LBB0_36
; %bb.5:
	v_lshrrev_b32_e32 v13, 6, v12
	v_mov_b32_e32 v7, 0
	v_mov_b32_e32 v6, 0
	s_mov_b32 s27, exec_lo
	s_waitcnt lgkmcnt(0)
	v_cmpx_gt_i32_e64 s41, v13
	s_cbranch_execz .LBB0_35
; %bb.6:
	v_and_b32_e32 v10, 63, v12
	s_lshl_b32 s33, s6, 6
	s_mul_i32 s1, s17, s7
	s_mul_hi_u32 s2, s16, s7
	s_mul_i32 s0, s16, s7
	v_or_b32_e32 v0, s33, v10
	s_add_i32 s1, s2, s1
	v_mad_u64_u32 v[2:3], null, s22, v13, 0
	s_lshl_b64 s[2:3], s[0:1], 3
	v_ashrrev_i32_e32 v1, 31, v0
	v_mul_lo_u32 v6, s15, v0
	v_mad_u64_u32 v[4:5], null, s14, v0, 0
	s_add_u32 s43, s10, s2
	v_mul_lo_u32 v7, s14, v1
	s_addc_u32 s44, s11, s3
	s_lshl_b64 s[4:5], s[12:13], 3
	v_sub_nc_u32_e32 v20, v0, v13
	s_add_u32 s12, s43, s4
	s_addc_u32 s13, s44, s5
	s_bitcmp1_b32 s40, 0
	s_cselect_b32 s0, -1, 0
	v_add3_u32 v5, v5, v7, v6
	s_and_b32 s1, s0, exec_lo
	s_cselect_b32 s40, s42, 0
	s_xor_b32 s16, s0, -1
	s_cmp_eq_u32 s42, 0
	v_lshlrev_b64 v[4:5], 3, v[4:5]
	s_cselect_b32 s17, -1, 0
	s_lshl_b64 s[20:21], s[20:21], 3
	s_or_b32 s17, s16, s17
	v_sub_nc_u32_e32 v8, s40, v10
	v_cmp_gt_i32_e64 s1, s41, v0
	v_add_co_u32 v14, vcc_lo, s12, v4
	v_mad_u64_u32 v[6:7], null, s23, v13, v[3:4]
	v_add_co_ci_u32_e64 v15, null, s13, v5, vcc_lo
	s_mul_i32 s12, s25, s7
	s_mul_hi_u32 s13, s24, s7
	v_mad_u64_u32 v[4:5], null, s14, v13, 0
	s_add_i32 s13, s13, s12
	s_mul_i32 s12, s24, s7
	v_mov_b32_e32 v3, v6
	s_lshl_b64 s[12:13], s[12:13], 3
	s_add_u32 s18, s18, s20
	s_addc_u32 s19, s19, s21
	s_add_u32 s20, s18, s12
	s_addc_u32 s21, s19, s13
	s_lshl_b64 s[18:19], s[14:15], 3
	s_lshl_b64 s[12:13], s[22:23], 7
	v_mad_u64_u32 v[5:6], null, s15, v13, v[5:6]
	s_lshl_b64 s[14:15], s[14:15], 7
	s_add_u32 s18, s18, -8
	v_lshlrev_b64 v[2:3], 3, v[2:3]
	v_mad_u64_u32 v[6:7], null, v13, s18, s[2:3]
	s_addc_u32 s2, s19, -1
	v_lshlrev_b64 v[4:5], 3, v[4:5]
	v_subrev_nc_u32_e32 v16, s33, v8
	v_add_co_u32 v2, vcc_lo, s20, v2
	v_add_co_ci_u32_e64 v3, null, s21, v3, vcc_lo
	v_mad_u64_u32 v[7:8], null, v13, s2, v[7:8]
	v_lshlrev_b64 v[8:9], 3, v[0:1]
	v_add_co_u32 v2, vcc_lo, v2, 4
	v_add_co_ci_u32_e64 v3, null, 0, v3, vcc_lo
	v_add_co_u32 v1, vcc_lo, s43, v4
	v_add_co_ci_u32_e64 v17, null, s44, v5, vcc_lo
	v_add_co_u32 v5, vcc_lo, v6, v8
	v_add3_u32 v4, s42, s33, v10
	v_add_co_ci_u32_e64 v6, null, v7, v9, vcc_lo
	v_add_co_u32 v18, vcc_lo, s10, v5
	v_sub_nc_u32_e32 v4, v4, v13
	v_add_co_ci_u32_e64 v19, null, s11, v6, vcc_lo
	v_mov_b32_e32 v9, 0
	v_mov_b32_e32 v7, 0
	;; [unrolled: 1-line block ×3, first 2 shown]
	s_add_u32 s10, s14, 0xffffff80
	s_mov_b32 s3, 0
	s_addc_u32 s11, s15, -1
	s_branch .LBB0_10
.LBB0_7:                                ;   in Loop: Header=BB0_10 Depth=1
	s_or_b32 exec_lo, exec_lo, s2
.LBB0_8:                                ;   in Loop: Header=BB0_10 Depth=1
	s_or_b32 exec_lo, exec_lo, s19
.LBB0_9:                                ;   in Loop: Header=BB0_10 Depth=1
	s_or_b32 exec_lo, exec_lo, s18
	v_add_nc_u32_e32 v13, 16, v13
	v_add_co_u32 v2, vcc_lo, v2, s12
	v_add_co_ci_u32_e64 v3, null, s13, v3, vcc_lo
	v_add_co_u32 v1, vcc_lo, v1, s14
	v_add_co_ci_u32_e64 v17, null, s15, v17, vcc_lo
	v_cmp_le_i32_e32 vcc_lo, s41, v13
	v_add_co_u32 v18, s2, v18, s10
	v_add_nc_u32_e32 v4, -16, v4
	v_add_co_ci_u32_e64 v19, null, s11, v19, s2
	v_add_nc_u32_e32 v20, -16, v20
	s_or_b32 s3, vcc_lo, s3
	s_andn2_b32 exec_lo, exec_lo, s3
	s_cbranch_execz .LBB0_34
.LBB0_10:                               ; =>This Inner Loop Header: Depth=1
	s_and_saveexec_b32 s18, s1
	s_cbranch_execz .LBB0_9
; %bb.11:                               ;   in Loop: Header=BB0_10 Depth=1
	v_cmp_gt_i32_e32 vcc_lo, v0, v13
	v_cndmask_b32_e64 v5, 0, 1, vcc_lo
	v_cmp_lt_i32_e32 vcc_lo, v0, v13
	v_cndmask_b32_e64 v8, 0, 1, vcc_lo
	v_cndmask_b32_e64 v5, v8, v5, s0
	v_and_b32_e32 v5, 1, v5
	v_cmp_eq_u32_e32 vcc_lo, 1, v5
	s_xor_b32 s2, vcc_lo, -1
	s_and_saveexec_b32 s19, s2
	s_xor_b32 s19, exec_lo, s19
	s_cbranch_execz .LBB0_31
; %bb.12:                               ;   in Loop: Header=BB0_10 Depth=1
	v_add_nc_u32_e32 v5, s42, v20
	v_cndmask_b32_e64 v8, v20, v5, s0
	v_cmp_le_i32_e32 vcc_lo, s42, v8
	v_cmp_gt_i32_e64 s2, 1, v8
	s_or_b32 s2, vcc_lo, s2
	s_and_saveexec_b32 s20, s2
	s_xor_b32 s2, exec_lo, s20
	s_cbranch_execz .LBB0_28
; %bb.13:                               ;   in Loop: Header=BB0_10 Depth=1
	s_mov_b32 s20, exec_lo
	v_cmpx_ne_u32_e32 0, v8
	s_xor_b32 s20, exec_lo, s20
	s_cbranch_execz .LBB0_21
; %bb.14:                               ;   in Loop: Header=BB0_10 Depth=1
	s_mov_b32 s21, exec_lo
	v_cmpx_eq_u32_e64 s42, v8
	s_cbranch_execz .LBB0_20
; %bb.15:                               ;   in Loop: Header=BB0_10 Depth=1
	s_and_b32 vcc_lo, exec_lo, s16
	s_mov_b32 s22, -1
                                        ; implicit-def: $vgpr5
                                        ; implicit-def: $vgpr8
	s_cbranch_vccz .LBB0_17
; %bb.16:                               ;   in Loop: Header=BB0_10 Depth=1
	v_add_co_u32 v10, vcc_lo, v18, s4
	v_add_co_ci_u32_e64 v11, null, s5, v19, vcc_lo
	s_mov_b32 s22, 0
	global_load_dwordx2 v[21:22], v[2:3], off offset:-4
	global_load_dwordx2 v[10:11], v[10:11], off
	s_waitcnt vmcnt(0)
	v_mul_f32_e32 v5, v22, v11
	v_mul_f32_e32 v11, v21, v11
	v_fma_f32 v5, v21, v10, -v5
	v_fmac_f32_e32 v11, v22, v10
	v_add_f32_e32 v8, v6, v5
	v_add_f32_e32 v5, v7, v11
.LBB0_17:                               ;   in Loop: Header=BB0_10 Depth=1
	s_andn2_b32 vcc_lo, exec_lo, s22
	s_cbranch_vccnz .LBB0_19
; %bb.18:                               ;   in Loop: Header=BB0_10 Depth=1
	v_ashrrev_i32_e32 v5, 31, v4
	v_lshlrev_b64 v[10:11], 3, v[4:5]
	v_add_co_u32 v5, vcc_lo, v1, v10
	v_add_co_ci_u32_e64 v8, null, v17, v11, vcc_lo
	v_add_co_u32 v10, vcc_lo, v5, s4
	v_add_co_ci_u32_e64 v11, null, s5, v8, vcc_lo
	global_load_dwordx2 v[21:22], v[2:3], off offset:-4
	global_load_dword v5, v[10:11], off
	s_waitcnt vmcnt(0)
	v_fmac_f32_e32 v7, v5, v22
	v_fmac_f32_e32 v6, v5, v21
	v_mov_b32_e32 v5, v7
	v_mov_b32_e32 v8, v6
.LBB0_19:                               ;   in Loop: Header=BB0_10 Depth=1
	v_mov_b32_e32 v7, v5
	v_mov_b32_e32 v6, v8
.LBB0_20:                               ;   in Loop: Header=BB0_10 Depth=1
	s_or_b32 exec_lo, exec_lo, s21
.LBB0_21:                               ;   in Loop: Header=BB0_10 Depth=1
	s_andn2_saveexec_b32 s20, s20
	s_cbranch_execz .LBB0_27
; %bb.22:                               ;   in Loop: Header=BB0_10 Depth=1
	v_add_co_u32 v10, vcc_lo, v1, s4
	v_add_co_ci_u32_e64 v11, null, s5, v17, vcc_lo
	s_andn2_b32 vcc_lo, exec_lo, s17
	s_mov_b32 s21, -1
                                        ; implicit-def: $vgpr8
                                        ; implicit-def: $vgpr5
	s_cbranch_vccnz .LBB0_24
; %bb.23:                               ;   in Loop: Header=BB0_10 Depth=1
	global_load_dword v8, v[10:11], off
	global_load_dwordx2 v[21:22], v[2:3], off offset:-4
	s_mov_b32 s21, 0
	s_waitcnt vmcnt(0)
	v_fma_f32 v5, v8, v21, v6
	v_fma_f32 v8, v8, v22, v7
.LBB0_24:                               ;   in Loop: Header=BB0_10 Depth=1
	s_andn2_b32 vcc_lo, exec_lo, s21
	s_cbranch_vccnz .LBB0_26
; %bb.25:                               ;   in Loop: Header=BB0_10 Depth=1
	global_load_dwordx2 v[10:11], v[10:11], off
	global_load_dwordx2 v[21:22], v[2:3], off offset:-4
	s_waitcnt vmcnt(0)
	v_mul_f32_e32 v5, v22, v11
	v_mul_f32_e32 v8, v21, v11
	v_fma_f32 v5, v21, v10, -v5
	v_fmac_f32_e32 v8, v22, v10
	v_add_f32_e32 v5, v6, v5
	v_add_f32_e32 v8, v7, v8
.LBB0_26:                               ;   in Loop: Header=BB0_10 Depth=1
	v_mov_b32_e32 v7, v8
	v_mov_b32_e32 v6, v5
.LBB0_27:                               ;   in Loop: Header=BB0_10 Depth=1
	s_or_b32 exec_lo, exec_lo, s20
.LBB0_28:                               ;   in Loop: Header=BB0_10 Depth=1
	s_andn2_saveexec_b32 s2, s2
	s_cbranch_execz .LBB0_30
; %bb.29:                               ;   in Loop: Header=BB0_10 Depth=1
	v_lshlrev_b64 v[10:11], 3, v[8:9]
	v_add_co_u32 v5, vcc_lo, v1, s4
	v_add_co_ci_u32_e64 v8, null, s5, v17, vcc_lo
	v_add_co_u32 v10, vcc_lo, v5, v10
	v_add_co_ci_u32_e64 v11, null, v8, v11, vcc_lo
	global_load_dwordx2 v[21:22], v[2:3], off offset:-4
	global_load_dwordx2 v[10:11], v[10:11], off
	s_waitcnt vmcnt(0)
	v_mul_f32_e32 v5, v22, v11
	v_mul_f32_e32 v8, v21, v11
	v_fma_f32 v5, v21, v10, -v5
	v_fmac_f32_e32 v8, v22, v10
	v_add_f32_e32 v6, v6, v5
	v_add_f32_e32 v7, v7, v8
.LBB0_30:                               ;   in Loop: Header=BB0_10 Depth=1
	s_or_b32 exec_lo, exec_lo, s2
.LBB0_31:                               ;   in Loop: Header=BB0_10 Depth=1
	s_andn2_saveexec_b32 s19, s19
	s_cbranch_execz .LBB0_8
; %bb.32:                               ;   in Loop: Header=BB0_10 Depth=1
	v_add_nc_u32_e32 v8, v16, v13
	v_cmp_ge_i32_e32 vcc_lo, s42, v8
	v_cmp_lt_i32_e64 s2, -1, v8
	s_and_b32 s20, vcc_lo, s2
	s_and_saveexec_b32 s2, s20
	s_cbranch_execz .LBB0_7
; %bb.33:                               ;   in Loop: Header=BB0_10 Depth=1
	v_lshlrev_b64 v[10:11], 3, v[8:9]
	v_add_co_u32 v10, vcc_lo, v14, v10
	v_add_co_ci_u32_e64 v11, null, v15, v11, vcc_lo
	global_load_dwordx2 v[21:22], v[2:3], off offset:-4
	global_load_dwordx2 v[10:11], v[10:11], off
	s_waitcnt vmcnt(0)
	v_mul_f32_e32 v5, v11, v22
	v_mul_f32_e32 v8, v11, v21
	v_fmac_f32_e32 v5, v10, v21
	v_fma_f32 v8, v10, v22, -v8
	v_add_f32_e32 v6, v6, v5
	v_add_f32_e32 v7, v7, v8
	s_branch .LBB0_7
.LBB0_34:
	s_or_b32 exec_lo, exec_lo, s3
.LBB0_35:
	s_or_b32 exec_lo, exec_lo, s27
	v_lshlrev_b32_e32 v0, 3, v12
	ds_write_b64 v0, v[6:7]
	s_waitcnt lgkmcnt(0)
	s_barrier
	buffer_gl0_inv
.LBB0_36:
	s_mov_b32 s0, exec_lo
	v_cmpx_gt_u32_e32 64, v12
	s_cbranch_execz .LBB0_48
; %bb.37:
	s_waitcnt lgkmcnt(0)
	s_mul_i32 s1, s39, s7
	s_mul_hi_u32 s2, s38, s7
	s_mul_i32 s0, s38, s7
	s_add_i32 s1, s2, s1
	v_lshl_or_b32 v4, s6, 6, v12
	s_lshl_b64 s[0:1], s[0:1], 3
	s_add_u32 s0, s28, s0
	s_addc_u32 s4, s29, s1
	s_lshl_b64 s[2:3], s[30:31], 3
	s_add_u32 s1, s0, s2
	v_cmp_gt_i32_e64 s0, s41, v4
	s_addc_u32 s2, s4, s3
	s_and_b32 vcc_lo, exec_lo, s26
	s_mov_b32 s3, -1
	s_cbranch_vccz .LBB0_43
; %bb.38:
	s_and_saveexec_b32 s3, s0
	s_cbranch_execz .LBB0_42
; %bb.39:
	v_ashrrev_i32_e32 v0, 31, v4
	v_mul_lo_u32 v2, s37, v4
	v_cmp_neq_f32_e64 s0, s8, 0
	v_cmp_neq_f32_e64 s4, s9, 0
	v_mul_lo_u32 v3, s36, v0
	v_mad_u64_u32 v[0:1], null, s36, v4, 0
	s_or_b32 s0, s0, s4
	s_andn2_b32 vcc_lo, exec_lo, s0
	v_add3_u32 v1, v1, v3, v2
	v_mov_b32_e32 v3, 0
	v_mov_b32_e32 v2, 0
	v_lshlrev_b64 v[0:1], 3, v[0:1]
	s_cbranch_vccnz .LBB0_41
; %bb.40:
	v_add_co_u32 v2, vcc_lo, s1, v0
	v_add_co_ci_u32_e64 v3, null, s2, v1, vcc_lo
	global_load_dwordx2 v[5:6], v[2:3], off
	s_waitcnt vmcnt(0)
	v_mul_f32_e32 v2, s9, v6
	v_mul_f32_e32 v3, s8, v6
	v_fma_f32 v2, s8, v5, -v2
	v_fmac_f32_e32 v3, s9, v5
.LBB0_41:
	v_add_co_u32 v0, vcc_lo, s1, v0
	v_add_co_ci_u32_e64 v1, null, s2, v1, vcc_lo
	global_store_dwordx2 v[0:1], v[2:3], off
.LBB0_42:
	s_or_b32 exec_lo, exec_lo, s3
	s_mov_b32 s3, 0
.LBB0_43:
	s_andn2_b32 vcc_lo, exec_lo, s3
	s_cbranch_vccnz .LBB0_48
; %bb.44:
	v_lshlrev_b32_e32 v13, 3, v12
	v_cmp_gt_i32_e32 vcc_lo, s41, v4
	ds_read2st64_b64 v[0:3], v13 offset1:1
	ds_read2st64_b64 v[5:8], v13 offset0:2 offset1:3
	ds_read2st64_b64 v[9:12], v13 offset0:4 offset1:5
	s_waitcnt lgkmcnt(2)
	v_add_f32_e32 v14, v0, v2
	v_add_f32_e32 v15, v1, v3
	ds_read2st64_b64 v[0:3], v13 offset0:6 offset1:7
	s_waitcnt lgkmcnt(2)
	v_add_f32_e32 v5, v14, v5
	v_add_f32_e32 v6, v15, v6
	v_add_f32_e32 v14, v5, v7
	v_add_f32_e32 v15, v6, v8
	ds_read2st64_b64 v[5:8], v13 offset0:8 offset1:9
	s_waitcnt lgkmcnt(2)
	v_add_f32_e32 v9, v14, v9
	v_add_f32_e32 v10, v15, v10
	;; [unrolled: 6-line block ×5, first 2 shown]
	v_add_f32_e32 v9, v9, v11
	v_add_f32_e32 v10, v10, v12
	s_waitcnt lgkmcnt(1)
	v_add_f32_e32 v0, v9, v0
	v_add_f32_e32 v1, v10, v1
	;; [unrolled: 1-line block ×4, first 2 shown]
	s_waitcnt lgkmcnt(0)
	v_add_f32_e32 v0, v0, v5
	v_add_f32_e32 v1, v1, v6
	;; [unrolled: 1-line block ×4, first 2 shown]
	ds_write_b64 v13, v[0:1]
	s_and_b32 exec_lo, exec_lo, vcc_lo
	s_cbranch_execz .LBB0_48
; %bb.45:
	v_ashrrev_i32_e32 v2, 31, v4
	v_mul_lo_u32 v5, s37, v4
	v_mad_u64_u32 v[3:4], null, s36, v4, 0
	v_mul_f32_e32 v6, s35, v1
	v_mul_lo_u32 v2, s36, v2
	v_cmp_neq_f32_e64 s0, s8, 0
	v_cmp_neq_f32_e64 s3, s9, 0
	s_or_b32 s0, s0, s3
	v_add3_u32 v4, v4, v2, v5
	v_mul_f32_e32 v2, s34, v1
	v_fma_f32 v1, v0, s34, -v6
	s_andn2_b32 vcc_lo, exec_lo, s0
	v_lshlrev_b64 v[3:4], 3, v[3:4]
	v_fmac_f32_e32 v2, s35, v0
	s_cbranch_vccnz .LBB0_47
; %bb.46:
	v_add_co_u32 v5, vcc_lo, s1, v3
	v_add_co_ci_u32_e64 v6, null, s2, v4, vcc_lo
	global_load_dwordx2 v[5:6], v[5:6], off
	s_waitcnt vmcnt(0)
	v_mul_f32_e32 v0, s9, v6
	v_mul_f32_e32 v6, s8, v6
	v_fma_f32 v0, s8, v5, -v0
	v_fmac_f32_e32 v6, s9, v5
	v_add_f32_e32 v1, v1, v0
	v_add_f32_e32 v2, v2, v6
.LBB0_47:
	v_add_co_u32 v3, vcc_lo, s1, v3
	v_add_co_ci_u32_e64 v4, null, s2, v4, vcc_lo
	global_store_dwordx2 v[3:4], v[1:2], off
.LBB0_48:
	s_endpgm
	.section	.rodata,"a",@progbits
	.p2align	6, 0x0
	.amdhsa_kernel _ZL20rocblas_hbmvn_kernelILi64ELi16EPK19rocblas_complex_numIfES3_PS1_EvbiiT1_T2_lllS6_lllS5_T3_llli
		.amdhsa_group_segment_fixed_size 8192
		.amdhsa_private_segment_fixed_size 0
		.amdhsa_kernarg_size 392
		.amdhsa_user_sgpr_count 6
		.amdhsa_user_sgpr_private_segment_buffer 1
		.amdhsa_user_sgpr_dispatch_ptr 0
		.amdhsa_user_sgpr_queue_ptr 0
		.amdhsa_user_sgpr_kernarg_segment_ptr 1
		.amdhsa_user_sgpr_dispatch_id 0
		.amdhsa_user_sgpr_flat_scratch_init 0
		.amdhsa_user_sgpr_private_segment_size 0
		.amdhsa_wavefront_size32 1
		.amdhsa_uses_dynamic_stack 0
		.amdhsa_system_sgpr_private_segment_wavefront_offset 0
		.amdhsa_system_sgpr_workgroup_id_x 1
		.amdhsa_system_sgpr_workgroup_id_y 0
		.amdhsa_system_sgpr_workgroup_id_z 1
		.amdhsa_system_sgpr_workgroup_info 0
		.amdhsa_system_vgpr_workitem_id 1
		.amdhsa_next_free_vgpr 23
		.amdhsa_next_free_sgpr 45
		.amdhsa_reserve_vcc 1
		.amdhsa_reserve_flat_scratch 0
		.amdhsa_float_round_mode_32 0
		.amdhsa_float_round_mode_16_64 0
		.amdhsa_float_denorm_mode_32 3
		.amdhsa_float_denorm_mode_16_64 3
		.amdhsa_dx10_clamp 1
		.amdhsa_ieee_mode 1
		.amdhsa_fp16_overflow 0
		.amdhsa_workgroup_processor_mode 1
		.amdhsa_memory_ordered 1
		.amdhsa_forward_progress 1
		.amdhsa_shared_vgpr_count 0
		.amdhsa_exception_fp_ieee_invalid_op 0
		.amdhsa_exception_fp_denorm_src 0
		.amdhsa_exception_fp_ieee_div_zero 0
		.amdhsa_exception_fp_ieee_overflow 0
		.amdhsa_exception_fp_ieee_underflow 0
		.amdhsa_exception_fp_ieee_inexact 0
		.amdhsa_exception_int_div_zero 0
	.end_amdhsa_kernel
	.section	.text._ZL20rocblas_hbmvn_kernelILi64ELi16EPK19rocblas_complex_numIfES3_PS1_EvbiiT1_T2_lllS6_lllS5_T3_llli,"axG",@progbits,_ZL20rocblas_hbmvn_kernelILi64ELi16EPK19rocblas_complex_numIfES3_PS1_EvbiiT1_T2_lllS6_lllS5_T3_llli,comdat
.Lfunc_end0:
	.size	_ZL20rocblas_hbmvn_kernelILi64ELi16EPK19rocblas_complex_numIfES3_PS1_EvbiiT1_T2_lllS6_lllS5_T3_llli, .Lfunc_end0-_ZL20rocblas_hbmvn_kernelILi64ELi16EPK19rocblas_complex_numIfES3_PS1_EvbiiT1_T2_lllS6_lllS5_T3_llli
                                        ; -- End function
	.set _ZL20rocblas_hbmvn_kernelILi64ELi16EPK19rocblas_complex_numIfES3_PS1_EvbiiT1_T2_lllS6_lllS5_T3_llli.num_vgpr, 23
	.set _ZL20rocblas_hbmvn_kernelILi64ELi16EPK19rocblas_complex_numIfES3_PS1_EvbiiT1_T2_lllS6_lllS5_T3_llli.num_agpr, 0
	.set _ZL20rocblas_hbmvn_kernelILi64ELi16EPK19rocblas_complex_numIfES3_PS1_EvbiiT1_T2_lllS6_lllS5_T3_llli.numbered_sgpr, 45
	.set _ZL20rocblas_hbmvn_kernelILi64ELi16EPK19rocblas_complex_numIfES3_PS1_EvbiiT1_T2_lllS6_lllS5_T3_llli.num_named_barrier, 0
	.set _ZL20rocblas_hbmvn_kernelILi64ELi16EPK19rocblas_complex_numIfES3_PS1_EvbiiT1_T2_lllS6_lllS5_T3_llli.private_seg_size, 0
	.set _ZL20rocblas_hbmvn_kernelILi64ELi16EPK19rocblas_complex_numIfES3_PS1_EvbiiT1_T2_lllS6_lllS5_T3_llli.uses_vcc, 1
	.set _ZL20rocblas_hbmvn_kernelILi64ELi16EPK19rocblas_complex_numIfES3_PS1_EvbiiT1_T2_lllS6_lllS5_T3_llli.uses_flat_scratch, 0
	.set _ZL20rocblas_hbmvn_kernelILi64ELi16EPK19rocblas_complex_numIfES3_PS1_EvbiiT1_T2_lllS6_lllS5_T3_llli.has_dyn_sized_stack, 0
	.set _ZL20rocblas_hbmvn_kernelILi64ELi16EPK19rocblas_complex_numIfES3_PS1_EvbiiT1_T2_lllS6_lllS5_T3_llli.has_recursion, 0
	.set _ZL20rocblas_hbmvn_kernelILi64ELi16EPK19rocblas_complex_numIfES3_PS1_EvbiiT1_T2_lllS6_lllS5_T3_llli.has_indirect_call, 0
	.section	.AMDGPU.csdata,"",@progbits
; Kernel info:
; codeLenInByte = 2132
; TotalNumSgprs: 47
; NumVgprs: 23
; ScratchSize: 0
; MemoryBound: 0
; FloatMode: 240
; IeeeMode: 1
; LDSByteSize: 8192 bytes/workgroup (compile time only)
; SGPRBlocks: 0
; VGPRBlocks: 2
; NumSGPRsForWavesPerEU: 47
; NumVGPRsForWavesPerEU: 23
; Occupancy: 16
; WaveLimiterHint : 0
; COMPUTE_PGM_RSRC2:SCRATCH_EN: 0
; COMPUTE_PGM_RSRC2:USER_SGPR: 6
; COMPUTE_PGM_RSRC2:TRAP_HANDLER: 0
; COMPUTE_PGM_RSRC2:TGID_X_EN: 1
; COMPUTE_PGM_RSRC2:TGID_Y_EN: 0
; COMPUTE_PGM_RSRC2:TGID_Z_EN: 1
; COMPUTE_PGM_RSRC2:TIDIG_COMP_CNT: 1
	.section	.text._ZL20rocblas_hbmvn_kernelILi64ELi16E19rocblas_complex_numIfEPKS1_PS1_EvbiiT1_T2_lllS6_lllS5_T3_llli,"axG",@progbits,_ZL20rocblas_hbmvn_kernelILi64ELi16E19rocblas_complex_numIfEPKS1_PS1_EvbiiT1_T2_lllS6_lllS5_T3_llli,comdat
	.globl	_ZL20rocblas_hbmvn_kernelILi64ELi16E19rocblas_complex_numIfEPKS1_PS1_EvbiiT1_T2_lllS6_lllS5_T3_llli ; -- Begin function _ZL20rocblas_hbmvn_kernelILi64ELi16E19rocblas_complex_numIfEPKS1_PS1_EvbiiT1_T2_lllS6_lllS5_T3_llli
	.p2align	8
	.type	_ZL20rocblas_hbmvn_kernelILi64ELi16E19rocblas_complex_numIfEPKS1_PS1_EvbiiT1_T2_lllS6_lllS5_T3_llli,@function
_ZL20rocblas_hbmvn_kernelILi64ELi16E19rocblas_complex_numIfEPKS1_PS1_EvbiiT1_T2_lllS6_lllS5_T3_llli: ; @_ZL20rocblas_hbmvn_kernelILi64ELi16E19rocblas_complex_numIfEPKS1_PS1_EvbiiT1_T2_lllS6_lllS5_T3_llli
; %bb.0:
	s_load_dwordx2 s[0:1], s[4:5], 0x94
	s_waitcnt lgkmcnt(0)
	s_lshr_b32 s2, s0, 16
	s_and_b32 s0, s0, 0xffff
	s_and_b32 s1, s1, 0xffff
	s_mul_i32 s2, s2, s0
	s_mul_i32 s2, s2, s1
	s_cmpk_lg_i32 s2, 0x400
	s_cbranch_scc1 .LBB1_48
; %bb.1:
	s_clause 0x2
	s_load_dwordx4 s[24:27], s[4:5], 0x0
	s_load_dword s3, s[4:5], 0x10
	s_load_dwordx2 s[28:29], s[4:5], 0x58
	s_waitcnt lgkmcnt(0)
	v_cmp_neq_f32_e64 s1, s27, 0
	v_cmp_neq_f32_e64 s2, s3, 0
	s_or_b32 s1, s1, s2
	s_and_b32 vcc_lo, exec_lo, s1
	s_mov_b32 s1, -1
	s_cbranch_vccnz .LBB1_3
; %bb.2:
	v_cmp_neq_f32_e64 s1, s28, 1.0
	v_cmp_neq_f32_e64 s2, s29, 0
	s_or_b32 s1, s1, s2
.LBB1_3:
	s_andn2_b32 vcc_lo, exec_lo, s1
	s_cbranch_vccnz .LBB1_48
; %bb.4:
	s_or_b32 s1, s27, s3
	v_mad_u32_u24 v12, v1, s0, v0
	s_bitset0_b32 s1, 31
	s_cmp_eq_u32 s1, 0
	s_cselect_b32 s30, -1, 0
	s_and_b32 vcc_lo, exec_lo, s30
	s_cbranch_vccnz .LBB1_36
; %bb.5:
	v_lshrrev_b32_e32 v13, 6, v12
	v_mov_b32_e32 v7, 0
	v_mov_b32_e32 v6, 0
	s_mov_b32 s31, exec_lo
	v_cmpx_gt_i32_e64 s25, v13
	s_cbranch_execz .LBB1_35
; %bb.6:
	s_load_dwordx16 s[8:23], s[4:5], 0x18
	v_and_b32_e32 v18, 63, v12
	s_lshl_b32 s2, s6, 6
	v_or_b32_e32 v0, s2, v18
	v_ashrrev_i32_e32 v1, 31, v0
	v_cmp_gt_i32_e64 s0, s25, v0
	v_sub_nc_u32_e32 v20, v0, v13
	s_waitcnt lgkmcnt(0)
	v_mul_lo_u32 v6, s12, v1
	v_mul_lo_u32 v7, s13, v0
	v_mad_u64_u32 v[2:3], null, s12, v0, 0
	s_mul_i32 s1, s15, s7
	s_mul_hi_u32 s15, s14, s7
	v_mad_u64_u32 v[4:5], null, s20, v13, 0
	s_mul_i32 s14, s14, s7
	s_add_i32 s15, s15, s1
	v_add3_u32 v3, v3, v6, v7
	s_lshl_b64 s[34:35], s[14:15], 3
	s_mul_hi_u32 s15, s22, s7
	s_add_u32 s33, s8, s34
	s_addc_u32 s36, s9, s35
	s_lshl_b64 s[10:11], s[10:11], 3
	v_mad_u64_u32 v[5:6], null, s21, v13, v[5:6]
	s_add_u32 s37, s33, s10
	s_addc_u32 s38, s36, s11
	v_lshlrev_b64 v[2:3], 3, v[2:3]
	v_mad_u64_u32 v[6:7], null, s12, v13, 0
	s_bitcmp1_b32 s24, 0
	s_mul_i32 s14, s22, s7
	s_cselect_b32 s1, -1, 0
	v_add_co_u32 v14, vcc_lo, s37, v2
	s_and_b32 s22, s1, exec_lo
	s_cselect_b32 s24, s26, 0
	s_xor_b32 s22, s1, -1
	s_mul_i32 s23, s23, s7
	s_cmp_eq_u32 s26, 0
	v_add_co_ci_u32_e64 v15, null, s38, v3, vcc_lo
	v_lshlrev_b64 v[2:3], 3, v[4:5]
	v_mov_b32_e32 v4, v7
	s_cselect_b32 s39, -1, 0
	s_add_i32 s15, s15, s23
	s_lshl_b64 s[18:19], s[18:19], 3
	s_or_b32 s23, s22, s39
	s_lshl_b64 s[14:15], s[14:15], 3
	s_add_u32 s16, s16, s18
	s_addc_u32 s17, s17, s19
	v_mad_u64_u32 v[4:5], null, s13, v13, v[4:5]
	s_add_u32 s18, s16, s14
	s_addc_u32 s19, s17, s15
	s_lshl_b64 s[16:17], s[12:13], 3
	s_lshl_b64 s[14:15], s[20:21], 7
	s_lshl_b64 s[12:13], s[12:13], 7
	s_add_u32 s16, s16, -8
	v_sub_nc_u32_e32 v5, s24, v18
	v_mad_u64_u32 v[8:9], null, v13, s16, s[34:35]
	v_mov_b32_e32 v7, v4
	v_add_co_u32 v2, vcc_lo, s18, v2
	v_subrev_nc_u32_e32 v16, s2, v5
	s_addc_u32 s16, s17, -1
	v_lshlrev_b64 v[5:6], 3, v[6:7]
	v_mov_b32_e32 v4, v9
	v_add_co_ci_u32_e64 v3, null, s19, v3, vcc_lo
	v_add_co_u32 v2, vcc_lo, v2, 4
	v_mad_u64_u32 v[9:10], null, v13, s16, v[4:5]
	v_lshlrev_b64 v[10:11], 3, v[0:1]
	v_add_co_ci_u32_e64 v3, null, 0, v3, vcc_lo
	v_add_co_u32 v1, vcc_lo, s33, v5
	v_add_co_ci_u32_e64 v17, null, s36, v6, vcc_lo
	v_add_co_u32 v5, vcc_lo, v8, v10
	v_add3_u32 v4, s26, s2, v18
	v_add_co_ci_u32_e64 v6, null, v9, v11, vcc_lo
	v_add_co_u32 v18, vcc_lo, s8, v5
	v_sub_nc_u32_e32 v4, v4, v13
	v_add_co_ci_u32_e64 v19, null, s9, v6, vcc_lo
	v_mov_b32_e32 v9, 0
	v_mov_b32_e32 v7, 0
	;; [unrolled: 1-line block ×3, first 2 shown]
	s_add_u32 s9, s12, 0xffffff80
	s_mov_b32 s8, 0
	s_addc_u32 s16, s13, -1
	s_branch .LBB1_10
.LBB1_7:                                ;   in Loop: Header=BB1_10 Depth=1
	s_or_b32 exec_lo, exec_lo, s2
.LBB1_8:                                ;   in Loop: Header=BB1_10 Depth=1
	s_or_b32 exec_lo, exec_lo, s18
.LBB1_9:                                ;   in Loop: Header=BB1_10 Depth=1
	s_or_b32 exec_lo, exec_lo, s17
	v_add_nc_u32_e32 v13, 16, v13
	v_add_co_u32 v2, vcc_lo, v2, s14
	v_add_co_ci_u32_e64 v3, null, s15, v3, vcc_lo
	v_add_co_u32 v1, vcc_lo, v1, s12
	v_add_co_ci_u32_e64 v17, null, s13, v17, vcc_lo
	v_cmp_le_i32_e32 vcc_lo, s25, v13
	v_add_co_u32 v18, s2, v18, s9
	v_add_nc_u32_e32 v4, -16, v4
	v_add_co_ci_u32_e64 v19, null, s16, v19, s2
	v_add_nc_u32_e32 v20, -16, v20
	s_or_b32 s8, vcc_lo, s8
	s_andn2_b32 exec_lo, exec_lo, s8
	s_cbranch_execz .LBB1_34
.LBB1_10:                               ; =>This Inner Loop Header: Depth=1
	s_and_saveexec_b32 s17, s0
	s_cbranch_execz .LBB1_9
; %bb.11:                               ;   in Loop: Header=BB1_10 Depth=1
	v_cmp_gt_i32_e32 vcc_lo, v0, v13
	v_cndmask_b32_e64 v5, 0, 1, vcc_lo
	v_cmp_lt_i32_e32 vcc_lo, v0, v13
	v_cndmask_b32_e64 v8, 0, 1, vcc_lo
	v_cndmask_b32_e64 v5, v8, v5, s1
	v_and_b32_e32 v5, 1, v5
	v_cmp_eq_u32_e32 vcc_lo, 1, v5
	s_xor_b32 s2, vcc_lo, -1
	s_and_saveexec_b32 s18, s2
	s_xor_b32 s18, exec_lo, s18
	s_cbranch_execz .LBB1_31
; %bb.12:                               ;   in Loop: Header=BB1_10 Depth=1
	v_add_nc_u32_e32 v5, s26, v20
	v_cndmask_b32_e64 v8, v20, v5, s1
	v_cmp_le_i32_e32 vcc_lo, s26, v8
	v_cmp_gt_i32_e64 s2, 1, v8
	s_or_b32 s2, vcc_lo, s2
	s_and_saveexec_b32 s19, s2
	s_xor_b32 s2, exec_lo, s19
	s_cbranch_execz .LBB1_28
; %bb.13:                               ;   in Loop: Header=BB1_10 Depth=1
	s_mov_b32 s19, exec_lo
	v_cmpx_ne_u32_e32 0, v8
	s_xor_b32 s19, exec_lo, s19
	s_cbranch_execz .LBB1_21
; %bb.14:                               ;   in Loop: Header=BB1_10 Depth=1
	s_mov_b32 s20, exec_lo
	v_cmpx_eq_u32_e64 s26, v8
	s_cbranch_execz .LBB1_20
; %bb.15:                               ;   in Loop: Header=BB1_10 Depth=1
	s_and_b32 vcc_lo, exec_lo, s22
	s_mov_b32 s21, -1
                                        ; implicit-def: $vgpr5
                                        ; implicit-def: $vgpr8
	s_cbranch_vccz .LBB1_17
; %bb.16:                               ;   in Loop: Header=BB1_10 Depth=1
	v_add_co_u32 v10, vcc_lo, v18, s10
	v_add_co_ci_u32_e64 v11, null, s11, v19, vcc_lo
	s_mov_b32 s21, 0
	global_load_dwordx2 v[21:22], v[2:3], off offset:-4
	global_load_dwordx2 v[10:11], v[10:11], off
	s_waitcnt vmcnt(0)
	v_mul_f32_e32 v5, v22, v11
	v_mul_f32_e32 v11, v21, v11
	v_fma_f32 v5, v21, v10, -v5
	v_fmac_f32_e32 v11, v22, v10
	v_add_f32_e32 v8, v6, v5
	v_add_f32_e32 v5, v7, v11
.LBB1_17:                               ;   in Loop: Header=BB1_10 Depth=1
	s_andn2_b32 vcc_lo, exec_lo, s21
	s_cbranch_vccnz .LBB1_19
; %bb.18:                               ;   in Loop: Header=BB1_10 Depth=1
	v_ashrrev_i32_e32 v5, 31, v4
	v_lshlrev_b64 v[10:11], 3, v[4:5]
	v_add_co_u32 v5, vcc_lo, v1, v10
	v_add_co_ci_u32_e64 v8, null, v17, v11, vcc_lo
	v_add_co_u32 v10, vcc_lo, v5, s10
	v_add_co_ci_u32_e64 v11, null, s11, v8, vcc_lo
	global_load_dwordx2 v[21:22], v[2:3], off offset:-4
	global_load_dword v5, v[10:11], off
	s_waitcnt vmcnt(0)
	v_fmac_f32_e32 v7, v5, v22
	v_fmac_f32_e32 v6, v5, v21
	v_mov_b32_e32 v5, v7
	v_mov_b32_e32 v8, v6
.LBB1_19:                               ;   in Loop: Header=BB1_10 Depth=1
	v_mov_b32_e32 v7, v5
	v_mov_b32_e32 v6, v8
.LBB1_20:                               ;   in Loop: Header=BB1_10 Depth=1
	s_or_b32 exec_lo, exec_lo, s20
.LBB1_21:                               ;   in Loop: Header=BB1_10 Depth=1
	s_andn2_saveexec_b32 s19, s19
	s_cbranch_execz .LBB1_27
; %bb.22:                               ;   in Loop: Header=BB1_10 Depth=1
	v_add_co_u32 v10, vcc_lo, v1, s10
	v_add_co_ci_u32_e64 v11, null, s11, v17, vcc_lo
	s_andn2_b32 vcc_lo, exec_lo, s23
	s_mov_b32 s20, -1
                                        ; implicit-def: $vgpr8
                                        ; implicit-def: $vgpr5
	s_cbranch_vccnz .LBB1_24
; %bb.23:                               ;   in Loop: Header=BB1_10 Depth=1
	global_load_dword v8, v[10:11], off
	global_load_dwordx2 v[21:22], v[2:3], off offset:-4
	s_mov_b32 s20, 0
	s_waitcnt vmcnt(0)
	v_fma_f32 v5, v8, v21, v6
	v_fma_f32 v8, v8, v22, v7
.LBB1_24:                               ;   in Loop: Header=BB1_10 Depth=1
	s_andn2_b32 vcc_lo, exec_lo, s20
	s_cbranch_vccnz .LBB1_26
; %bb.25:                               ;   in Loop: Header=BB1_10 Depth=1
	global_load_dwordx2 v[10:11], v[10:11], off
	global_load_dwordx2 v[21:22], v[2:3], off offset:-4
	s_waitcnt vmcnt(0)
	v_mul_f32_e32 v5, v22, v11
	v_mul_f32_e32 v8, v21, v11
	v_fma_f32 v5, v21, v10, -v5
	v_fmac_f32_e32 v8, v22, v10
	v_add_f32_e32 v5, v6, v5
	v_add_f32_e32 v8, v7, v8
.LBB1_26:                               ;   in Loop: Header=BB1_10 Depth=1
	v_mov_b32_e32 v7, v8
	v_mov_b32_e32 v6, v5
.LBB1_27:                               ;   in Loop: Header=BB1_10 Depth=1
	s_or_b32 exec_lo, exec_lo, s19
.LBB1_28:                               ;   in Loop: Header=BB1_10 Depth=1
	s_andn2_saveexec_b32 s2, s2
	s_cbranch_execz .LBB1_30
; %bb.29:                               ;   in Loop: Header=BB1_10 Depth=1
	v_lshlrev_b64 v[10:11], 3, v[8:9]
	v_add_co_u32 v5, vcc_lo, v1, s10
	v_add_co_ci_u32_e64 v8, null, s11, v17, vcc_lo
	v_add_co_u32 v10, vcc_lo, v5, v10
	v_add_co_ci_u32_e64 v11, null, v8, v11, vcc_lo
	global_load_dwordx2 v[21:22], v[2:3], off offset:-4
	global_load_dwordx2 v[10:11], v[10:11], off
	s_waitcnt vmcnt(0)
	v_mul_f32_e32 v5, v22, v11
	v_mul_f32_e32 v8, v21, v11
	v_fma_f32 v5, v21, v10, -v5
	v_fmac_f32_e32 v8, v22, v10
	v_add_f32_e32 v6, v6, v5
	v_add_f32_e32 v7, v7, v8
.LBB1_30:                               ;   in Loop: Header=BB1_10 Depth=1
	s_or_b32 exec_lo, exec_lo, s2
.LBB1_31:                               ;   in Loop: Header=BB1_10 Depth=1
	s_andn2_saveexec_b32 s18, s18
	s_cbranch_execz .LBB1_8
; %bb.32:                               ;   in Loop: Header=BB1_10 Depth=1
	v_add_nc_u32_e32 v8, v16, v13
	v_cmp_ge_i32_e32 vcc_lo, s26, v8
	v_cmp_lt_i32_e64 s2, -1, v8
	s_and_b32 s19, vcc_lo, s2
	s_and_saveexec_b32 s2, s19
	s_cbranch_execz .LBB1_7
; %bb.33:                               ;   in Loop: Header=BB1_10 Depth=1
	v_lshlrev_b64 v[10:11], 3, v[8:9]
	v_add_co_u32 v10, vcc_lo, v14, v10
	v_add_co_ci_u32_e64 v11, null, v15, v11, vcc_lo
	global_load_dwordx2 v[21:22], v[2:3], off offset:-4
	global_load_dwordx2 v[10:11], v[10:11], off
	s_waitcnt vmcnt(0)
	v_mul_f32_e32 v5, v11, v22
	v_mul_f32_e32 v8, v11, v21
	v_fmac_f32_e32 v5, v10, v21
	v_fma_f32 v8, v10, v22, -v8
	v_add_f32_e32 v6, v6, v5
	v_add_f32_e32 v7, v7, v8
	s_branch .LBB1_7
.LBB1_34:
	s_or_b32 exec_lo, exec_lo, s8
.LBB1_35:
	s_or_b32 exec_lo, exec_lo, s31
	v_lshlrev_b32_e32 v0, 3, v12
	ds_write_b64 v0, v[6:7]
	s_waitcnt lgkmcnt(0)
	s_barrier
	buffer_gl0_inv
.LBB1_36:
	s_mov_b32 s0, exec_lo
	v_cmpx_gt_u32_e32 64, v12
	s_cbranch_execz .LBB1_48
; %bb.37:
	s_load_dwordx8 s[8:15], s[4:5], 0x60
	v_lshl_or_b32 v4, s6, 6, v12
	s_waitcnt lgkmcnt(0)
	s_mul_i32 s1, s15, s7
	s_mul_hi_u32 s2, s14, s7
	s_mul_i32 s0, s14, s7
	s_add_i32 s1, s2, s1
	s_lshl_b64 s[0:1], s[0:1], 3
	s_add_u32 s0, s8, s0
	s_addc_u32 s2, s9, s1
	s_lshl_b64 s[4:5], s[10:11], 3
	s_add_u32 s1, s0, s4
	v_cmp_gt_i32_e64 s0, s25, v4
	s_addc_u32 s2, s2, s5
	s_and_b32 vcc_lo, exec_lo, s30
	s_mov_b32 s4, -1
	s_cbranch_vccz .LBB1_43
; %bb.38:
	s_and_saveexec_b32 s4, s0
	s_cbranch_execz .LBB1_42
; %bb.39:
	v_ashrrev_i32_e32 v0, 31, v4
	v_mul_lo_u32 v2, s13, v4
	v_cmp_neq_f32_e64 s0, s28, 0
	v_cmp_neq_f32_e64 s5, s29, 0
	v_mul_lo_u32 v3, s12, v0
	v_mad_u64_u32 v[0:1], null, s12, v4, 0
	s_or_b32 s0, s0, s5
	s_andn2_b32 vcc_lo, exec_lo, s0
	v_add3_u32 v1, v1, v3, v2
	v_mov_b32_e32 v3, 0
	v_mov_b32_e32 v2, 0
	v_lshlrev_b64 v[0:1], 3, v[0:1]
	s_cbranch_vccnz .LBB1_41
; %bb.40:
	v_add_co_u32 v2, vcc_lo, s1, v0
	v_add_co_ci_u32_e64 v3, null, s2, v1, vcc_lo
	global_load_dwordx2 v[5:6], v[2:3], off
	s_waitcnt vmcnt(0)
	v_mul_f32_e32 v2, s29, v6
	v_mul_f32_e32 v3, s28, v6
	v_fma_f32 v2, s28, v5, -v2
	v_fmac_f32_e32 v3, s29, v5
.LBB1_41:
	v_add_co_u32 v0, vcc_lo, s1, v0
	v_add_co_ci_u32_e64 v1, null, s2, v1, vcc_lo
	global_store_dwordx2 v[0:1], v[2:3], off
.LBB1_42:
	s_or_b32 exec_lo, exec_lo, s4
	s_mov_b32 s4, 0
.LBB1_43:
	s_andn2_b32 vcc_lo, exec_lo, s4
	s_cbranch_vccnz .LBB1_48
; %bb.44:
	v_lshlrev_b32_e32 v13, 3, v12
	v_cmp_gt_i32_e32 vcc_lo, s25, v4
	ds_read2st64_b64 v[0:3], v13 offset1:1
	ds_read2st64_b64 v[5:8], v13 offset0:2 offset1:3
	ds_read2st64_b64 v[9:12], v13 offset0:4 offset1:5
	s_waitcnt lgkmcnt(2)
	v_add_f32_e32 v14, v0, v2
	v_add_f32_e32 v15, v1, v3
	ds_read2st64_b64 v[0:3], v13 offset0:6 offset1:7
	s_waitcnt lgkmcnt(2)
	v_add_f32_e32 v5, v14, v5
	v_add_f32_e32 v6, v15, v6
	v_add_f32_e32 v14, v5, v7
	v_add_f32_e32 v15, v6, v8
	ds_read2st64_b64 v[5:8], v13 offset0:8 offset1:9
	s_waitcnt lgkmcnt(2)
	v_add_f32_e32 v9, v14, v9
	v_add_f32_e32 v10, v15, v10
	;; [unrolled: 6-line block ×5, first 2 shown]
	v_add_f32_e32 v9, v9, v11
	v_add_f32_e32 v10, v10, v12
	s_waitcnt lgkmcnt(1)
	v_add_f32_e32 v0, v9, v0
	v_add_f32_e32 v1, v10, v1
	;; [unrolled: 1-line block ×4, first 2 shown]
	s_waitcnt lgkmcnt(0)
	v_add_f32_e32 v0, v0, v5
	v_add_f32_e32 v1, v1, v6
	;; [unrolled: 1-line block ×4, first 2 shown]
	ds_write_b64 v13, v[0:1]
	s_and_b32 exec_lo, exec_lo, vcc_lo
	s_cbranch_execz .LBB1_48
; %bb.45:
	v_ashrrev_i32_e32 v2, 31, v4
	v_mul_lo_u32 v5, s13, v4
	v_mad_u64_u32 v[3:4], null, s12, v4, 0
	v_mul_f32_e32 v6, s3, v1
	v_mul_lo_u32 v2, s12, v2
	v_cmp_neq_f32_e64 s0, s28, 0
	v_cmp_neq_f32_e64 s4, s29, 0
	s_or_b32 s0, s0, s4
	v_add3_u32 v4, v4, v2, v5
	v_mul_f32_e32 v2, s27, v1
	v_fma_f32 v1, v0, s27, -v6
	s_andn2_b32 vcc_lo, exec_lo, s0
	v_lshlrev_b64 v[3:4], 3, v[3:4]
	v_fmac_f32_e32 v2, s3, v0
	s_cbranch_vccnz .LBB1_47
; %bb.46:
	v_add_co_u32 v5, vcc_lo, s1, v3
	v_add_co_ci_u32_e64 v6, null, s2, v4, vcc_lo
	global_load_dwordx2 v[5:6], v[5:6], off
	s_waitcnt vmcnt(0)
	v_mul_f32_e32 v0, s29, v6
	v_mul_f32_e32 v6, s28, v6
	v_fma_f32 v0, s28, v5, -v0
	v_fmac_f32_e32 v6, s29, v5
	v_add_f32_e32 v1, v1, v0
	v_add_f32_e32 v2, v2, v6
.LBB1_47:
	v_add_co_u32 v3, vcc_lo, s1, v3
	v_add_co_ci_u32_e64 v4, null, s2, v4, vcc_lo
	global_store_dwordx2 v[3:4], v[1:2], off
.LBB1_48:
	s_endpgm
	.section	.rodata,"a",@progbits
	.p2align	6, 0x0
	.amdhsa_kernel _ZL20rocblas_hbmvn_kernelILi64ELi16E19rocblas_complex_numIfEPKS1_PS1_EvbiiT1_T2_lllS6_lllS5_T3_llli
		.amdhsa_group_segment_fixed_size 8192
		.amdhsa_private_segment_fixed_size 0
		.amdhsa_kernarg_size 392
		.amdhsa_user_sgpr_count 6
		.amdhsa_user_sgpr_private_segment_buffer 1
		.amdhsa_user_sgpr_dispatch_ptr 0
		.amdhsa_user_sgpr_queue_ptr 0
		.amdhsa_user_sgpr_kernarg_segment_ptr 1
		.amdhsa_user_sgpr_dispatch_id 0
		.amdhsa_user_sgpr_flat_scratch_init 0
		.amdhsa_user_sgpr_private_segment_size 0
		.amdhsa_wavefront_size32 1
		.amdhsa_uses_dynamic_stack 0
		.amdhsa_system_sgpr_private_segment_wavefront_offset 0
		.amdhsa_system_sgpr_workgroup_id_x 1
		.amdhsa_system_sgpr_workgroup_id_y 0
		.amdhsa_system_sgpr_workgroup_id_z 1
		.amdhsa_system_sgpr_workgroup_info 0
		.amdhsa_system_vgpr_workitem_id 1
		.amdhsa_next_free_vgpr 23
		.amdhsa_next_free_sgpr 40
		.amdhsa_reserve_vcc 1
		.amdhsa_reserve_flat_scratch 0
		.amdhsa_float_round_mode_32 0
		.amdhsa_float_round_mode_16_64 0
		.amdhsa_float_denorm_mode_32 3
		.amdhsa_float_denorm_mode_16_64 3
		.amdhsa_dx10_clamp 1
		.amdhsa_ieee_mode 1
		.amdhsa_fp16_overflow 0
		.amdhsa_workgroup_processor_mode 1
		.amdhsa_memory_ordered 1
		.amdhsa_forward_progress 1
		.amdhsa_shared_vgpr_count 0
		.amdhsa_exception_fp_ieee_invalid_op 0
		.amdhsa_exception_fp_denorm_src 0
		.amdhsa_exception_fp_ieee_div_zero 0
		.amdhsa_exception_fp_ieee_overflow 0
		.amdhsa_exception_fp_ieee_underflow 0
		.amdhsa_exception_fp_ieee_inexact 0
		.amdhsa_exception_int_div_zero 0
	.end_amdhsa_kernel
	.section	.text._ZL20rocblas_hbmvn_kernelILi64ELi16E19rocblas_complex_numIfEPKS1_PS1_EvbiiT1_T2_lllS6_lllS5_T3_llli,"axG",@progbits,_ZL20rocblas_hbmvn_kernelILi64ELi16E19rocblas_complex_numIfEPKS1_PS1_EvbiiT1_T2_lllS6_lllS5_T3_llli,comdat
.Lfunc_end1:
	.size	_ZL20rocblas_hbmvn_kernelILi64ELi16E19rocblas_complex_numIfEPKS1_PS1_EvbiiT1_T2_lllS6_lllS5_T3_llli, .Lfunc_end1-_ZL20rocblas_hbmvn_kernelILi64ELi16E19rocblas_complex_numIfEPKS1_PS1_EvbiiT1_T2_lllS6_lllS5_T3_llli
                                        ; -- End function
	.set _ZL20rocblas_hbmvn_kernelILi64ELi16E19rocblas_complex_numIfEPKS1_PS1_EvbiiT1_T2_lllS6_lllS5_T3_llli.num_vgpr, 23
	.set _ZL20rocblas_hbmvn_kernelILi64ELi16E19rocblas_complex_numIfEPKS1_PS1_EvbiiT1_T2_lllS6_lllS5_T3_llli.num_agpr, 0
	.set _ZL20rocblas_hbmvn_kernelILi64ELi16E19rocblas_complex_numIfEPKS1_PS1_EvbiiT1_T2_lllS6_lllS5_T3_llli.numbered_sgpr, 40
	.set _ZL20rocblas_hbmvn_kernelILi64ELi16E19rocblas_complex_numIfEPKS1_PS1_EvbiiT1_T2_lllS6_lllS5_T3_llli.num_named_barrier, 0
	.set _ZL20rocblas_hbmvn_kernelILi64ELi16E19rocblas_complex_numIfEPKS1_PS1_EvbiiT1_T2_lllS6_lllS5_T3_llli.private_seg_size, 0
	.set _ZL20rocblas_hbmvn_kernelILi64ELi16E19rocblas_complex_numIfEPKS1_PS1_EvbiiT1_T2_lllS6_lllS5_T3_llli.uses_vcc, 1
	.set _ZL20rocblas_hbmvn_kernelILi64ELi16E19rocblas_complex_numIfEPKS1_PS1_EvbiiT1_T2_lllS6_lllS5_T3_llli.uses_flat_scratch, 0
	.set _ZL20rocblas_hbmvn_kernelILi64ELi16E19rocblas_complex_numIfEPKS1_PS1_EvbiiT1_T2_lllS6_lllS5_T3_llli.has_dyn_sized_stack, 0
	.set _ZL20rocblas_hbmvn_kernelILi64ELi16E19rocblas_complex_numIfEPKS1_PS1_EvbiiT1_T2_lllS6_lllS5_T3_llli.has_recursion, 0
	.set _ZL20rocblas_hbmvn_kernelILi64ELi16E19rocblas_complex_numIfEPKS1_PS1_EvbiiT1_T2_lllS6_lllS5_T3_llli.has_indirect_call, 0
	.section	.AMDGPU.csdata,"",@progbits
; Kernel info:
; codeLenInByte = 2124
; TotalNumSgprs: 42
; NumVgprs: 23
; ScratchSize: 0
; MemoryBound: 0
; FloatMode: 240
; IeeeMode: 1
; LDSByteSize: 8192 bytes/workgroup (compile time only)
; SGPRBlocks: 0
; VGPRBlocks: 2
; NumSGPRsForWavesPerEU: 42
; NumVGPRsForWavesPerEU: 23
; Occupancy: 16
; WaveLimiterHint : 1
; COMPUTE_PGM_RSRC2:SCRATCH_EN: 0
; COMPUTE_PGM_RSRC2:USER_SGPR: 6
; COMPUTE_PGM_RSRC2:TRAP_HANDLER: 0
; COMPUTE_PGM_RSRC2:TGID_X_EN: 1
; COMPUTE_PGM_RSRC2:TGID_Y_EN: 0
; COMPUTE_PGM_RSRC2:TGID_Z_EN: 1
; COMPUTE_PGM_RSRC2:TIDIG_COMP_CNT: 1
	.section	.text._ZL20rocblas_hbmvn_kernelILi64ELi16EPK19rocblas_complex_numIdES3_PS1_EvbiiT1_T2_lllS6_lllS5_T3_llli,"axG",@progbits,_ZL20rocblas_hbmvn_kernelILi64ELi16EPK19rocblas_complex_numIdES3_PS1_EvbiiT1_T2_lllS6_lllS5_T3_llli,comdat
	.globl	_ZL20rocblas_hbmvn_kernelILi64ELi16EPK19rocblas_complex_numIdES3_PS1_EvbiiT1_T2_lllS6_lllS5_T3_llli ; -- Begin function _ZL20rocblas_hbmvn_kernelILi64ELi16EPK19rocblas_complex_numIdES3_PS1_EvbiiT1_T2_lllS6_lllS5_T3_llli
	.p2align	8
	.type	_ZL20rocblas_hbmvn_kernelILi64ELi16EPK19rocblas_complex_numIdES3_PS1_EvbiiT1_T2_lllS6_lllS5_T3_llli,@function
_ZL20rocblas_hbmvn_kernelILi64ELi16EPK19rocblas_complex_numIdES3_PS1_EvbiiT1_T2_lllS6_lllS5_T3_llli: ; @_ZL20rocblas_hbmvn_kernelILi64ELi16EPK19rocblas_complex_numIdES3_PS1_EvbiiT1_T2_lllS6_lllS5_T3_llli
; %bb.0:
	s_load_dwordx2 s[0:1], s[4:5], 0x94
	s_waitcnt lgkmcnt(0)
	s_lshr_b32 s2, s0, 16
	s_and_b32 s0, s0, 0xffff
	s_and_b32 s1, s1, 0xffff
	s_mul_i32 s2, s2, s0
	s_mul_i32 s2, s2, s1
	s_cmpk_lg_i32 s2, 0x400
	s_cbranch_scc1 .LBB2_51
; %bb.1:
	s_load_dwordx16 s[8:23], s[4:5], 0x10
	s_waitcnt lgkmcnt(0)
	s_load_dwordx4 s[40:43], s[8:9], 0x0
	s_load_dwordx8 s[24:31], s[4:5], 0x50
	s_waitcnt lgkmcnt(0)
	v_cmp_neq_f64_e64 s1, s[40:41], 0
	v_cmp_neq_f64_e64 s2, s[42:43], 0
	s_load_dwordx4 s[36:39], s[26:27], 0x0
	s_or_b32 s26, s1, s2
	s_mov_b32 s1, -1
	s_and_b32 vcc_lo, exec_lo, s26
	s_cbranch_vccnz .LBB2_3
; %bb.2:
	s_waitcnt lgkmcnt(0)
	v_cmp_neq_f64_e64 s1, s[36:37], 1.0
	v_cmp_neq_f64_e64 s2, s[38:39], 0
	s_or_b32 s1, s1, s2
.LBB2_3:
	s_andn2_b32 vcc_lo, exec_lo, s1
	s_cbranch_vccnz .LBB2_51
; %bb.4:
	s_clause 0x1
	s_load_dwordx4 s[44:47], s[4:5], 0x70
	s_load_dwordx4 s[48:51], s[4:5], 0x0
	v_mad_u32_u24 v18, v1, s0, v0
	s_andn2_b32 vcc_lo, exec_lo, s26
	s_cbranch_vccnz .LBB2_36
; %bb.5:
	v_mov_b32_e32 v2, 0
	v_mov_b32_e32 v0, 0
	v_lshrrev_b32_e32 v19, 6, v18
	v_mov_b32_e32 v3, 0
	v_mov_b32_e32 v1, 0
	s_mov_b32 s27, exec_lo
	s_waitcnt lgkmcnt(0)
	v_cmpx_gt_i32_e64 s49, v19
	s_cbranch_execz .LBB2_35
; %bb.6:
	s_mul_i32 s0, s17, s7
	s_mul_hi_u32 s1, s16, s7
	v_and_b32_e32 v9, 63, v18
	s_add_i32 s1, s1, s0
	s_mul_i32 s0, s16, s7
	s_lshl_b32 s34, s6, 6
	s_lshl_b64 s[2:3], s[0:1], 4
	v_or_b32_e32 v4, s34, v9
	s_add_u32 s35, s10, s2
	s_addc_u32 s51, s11, s3
	s_lshl_b64 s[4:5], s[12:13], 4
	v_add3_u32 v2, s50, s34, v9
	s_add_u32 s52, s35, s4
	s_addc_u32 s53, s51, s5
	s_bitcmp1_b32 s48, 0
	v_mad_u64_u32 v[0:1], null, s22, v19, 0
	s_cselect_b32 s0, -1, 0
	v_sub_nc_u32_e32 v6, v2, v19
	v_mad_u64_u32 v[2:3], null, s14, v4, 0
	v_ashrrev_i32_e32 v5, 31, v4
	s_and_b32 s1, s0, exec_lo
	s_cselect_b32 s48, s50, 0
	s_xor_b32 s16, s0, -1
	v_sub_nc_u32_e32 v7, v4, v19
	s_cmp_eq_u32 s50, 0
	v_mul_lo_u32 v10, s14, v5
	s_cselect_b32 s8, -1, 0
	v_mul_lo_u32 v11, s15, v4
	s_or_b32 s33, s16, s8
	s_mul_i32 s8, s25, s7
	s_mul_hi_u32 s9, s24, s7
	v_cndmask_b32_e64 v20, v7, v6, s0
	v_mad_u64_u32 v[7:8], null, s23, v19, v[1:2]
	s_add_i32 s9, s9, s8
	s_mul_i32 s8, s24, s7
	v_mad_u64_u32 v[12:13], null, s14, v19, 0
	s_lshl_b64 s[12:13], s[20:21], 4
	s_lshl_b64 s[8:9], s[8:9], 4
	s_add_u32 s12, s18, s12
	s_addc_u32 s13, s19, s13
	v_add3_u32 v3, v3, v10, v11
	s_add_u32 s20, s12, s8
	s_addc_u32 s21, s13, s9
	s_lshl_b64 s[18:19], s[14:15], 4
	v_mov_b32_e32 v1, v7
	s_lshl_b64 s[8:9], s[22:23], 8
	s_lshl_b64 s[12:13], s[14:15], 8
	s_add_u32 s14, s18, -16
	v_mov_b32_e32 v7, v13
	v_lshlrev_b64 v[2:3], 4, v[2:3]
	v_mad_u64_u32 v[10:11], null, v19, s14, s[2:3]
	v_lshlrev_b64 v[0:1], 4, v[0:1]
	v_mad_u64_u32 v[7:8], null, s15, v19, v[7:8]
	v_add_co_u32 v21, vcc_lo, s52, v2
	v_add_co_ci_u32_e64 v22, null, s53, v3, vcc_lo
	v_add_co_u32 v3, vcc_lo, s20, v0
	v_mov_b32_e32 v0, v11
	s_addc_u32 s2, s19, -1
	v_mov_b32_e32 v13, v7
	v_add_co_ci_u32_e64 v14, null, s21, v1, vcc_lo
	v_mad_u64_u32 v[0:1], null, v19, s2, v[0:1]
	v_lshlrev_b64 v[1:2], 4, v[4:5]
	v_lshlrev_b64 v[12:13], 4, v[12:13]
	v_add_co_u32 v8, vcc_lo, v3, 8
	v_sub_nc_u32_e32 v11, s48, v9
	v_add_co_ci_u32_e64 v9, null, 0, v14, vcc_lo
	v_add_co_u32 v1, vcc_lo, v10, v1
	v_add_co_ci_u32_e64 v0, null, v0, v2, vcc_lo
	v_add_co_u32 v23, vcc_lo, s35, v12
	;; [unrolled: 2-line block ×5, first 2 shown]
	v_add_co_ci_u32_e64 v28, null, 0, v0, vcc_lo
	v_mov_b32_e32 v2, 0
	v_mov_b32_e32 v0, 0
	v_cmp_gt_i32_e64 s1, s49, v4
	v_subrev_nc_u32_e32 v5, s34, v11
	v_mov_b32_e32 v11, 0
	v_mov_b32_e32 v3, 0
	;; [unrolled: 1-line block ×3, first 2 shown]
	s_add_u32 s3, s12, 0xffffff00
	s_mov_b32 s17, 0
	s_addc_u32 s14, s13, -1
	s_mov_b64 s[10:11], 0
	s_branch .LBB2_10
.LBB2_7:                                ;   in Loop: Header=BB2_10 Depth=1
	s_or_b32 exec_lo, exec_lo, s2
.LBB2_8:                                ;   in Loop: Header=BB2_10 Depth=1
	s_or_b32 exec_lo, exec_lo, s18
.LBB2_9:                                ;   in Loop: Header=BB2_10 Depth=1
	s_or_b32 exec_lo, exec_lo, s15
	v_add_co_u32 v8, vcc_lo, v8, s8
	v_add_nc_u32_e32 v19, 16, v19
	v_add_co_ci_u32_e64 v9, null, s9, v9, vcc_lo
	v_add_co_u32 v25, vcc_lo, v25, s12
	v_add_co_ci_u32_e64 v26, null, s13, v26, vcc_lo
	v_add_co_u32 v23, vcc_lo, v23, s12
	v_add_co_ci_u32_e64 v24, null, s13, v24, vcc_lo
	v_cmp_le_i32_e32 vcc_lo, s49, v19
	v_add_co_u32 v27, s2, v27, s3
	v_add_nc_u32_e32 v6, -16, v6
	v_add_co_ci_u32_e64 v28, null, s14, v28, s2
	s_add_u32 s10, s10, -16
	s_addc_u32 s11, s11, -1
	s_or_b32 s17, vcc_lo, s17
	s_andn2_b32 exec_lo, exec_lo, s17
	s_cbranch_execz .LBB2_34
.LBB2_10:                               ; =>This Inner Loop Header: Depth=1
	s_and_saveexec_b32 s15, s1
	s_cbranch_execz .LBB2_9
; %bb.11:                               ;   in Loop: Header=BB2_10 Depth=1
	v_cmp_gt_i32_e32 vcc_lo, v4, v19
	v_cndmask_b32_e64 v7, 0, 1, vcc_lo
	v_cmp_lt_i32_e32 vcc_lo, v4, v19
	v_cndmask_b32_e64 v10, 0, 1, vcc_lo
	v_cndmask_b32_e64 v7, v10, v7, s0
	v_and_b32_e32 v7, 1, v7
	v_cmp_eq_u32_e32 vcc_lo, 1, v7
	s_xor_b32 s2, vcc_lo, -1
	s_and_saveexec_b32 s18, s2
	s_xor_b32 s18, exec_lo, s18
	s_cbranch_execz .LBB2_31
; %bb.12:                               ;   in Loop: Header=BB2_10 Depth=1
	v_add_nc_u32_e32 v10, s10, v20
	v_cmp_le_i32_e32 vcc_lo, s50, v10
	v_cmp_gt_i32_e64 s2, 1, v10
	s_or_b32 s2, vcc_lo, s2
	s_and_saveexec_b32 s19, s2
	s_xor_b32 s2, exec_lo, s19
	s_cbranch_execz .LBB2_28
; %bb.13:                               ;   in Loop: Header=BB2_10 Depth=1
	s_mov_b32 s19, exec_lo
	v_cmpx_ne_u32_e32 0, v10
	s_xor_b32 s19, exec_lo, s19
	s_cbranch_execz .LBB2_21
; %bb.14:                               ;   in Loop: Header=BB2_10 Depth=1
	s_mov_b32 s20, exec_lo
	v_cmpx_eq_u32_e64 s50, v10
	s_cbranch_execz .LBB2_20
; %bb.15:                               ;   in Loop: Header=BB2_10 Depth=1
	s_and_b32 vcc_lo, exec_lo, s16
	s_mov_b32 s21, -1
                                        ; implicit-def: $vgpr14_vgpr15
                                        ; implicit-def: $vgpr12_vgpr13
	s_cbranch_vccz .LBB2_17
; %bb.16:                               ;   in Loop: Header=BB2_10 Depth=1
	v_add_co_u32 v16, vcc_lo, v27, s4
	v_add_co_ci_u32_e64 v17, null, s5, v28, vcc_lo
	s_mov_b32 s21, 0
	global_load_dwordx4 v[12:15], v[8:9], off offset:-8
	global_load_dwordx4 v[29:32], v[16:17], off offset:-8
	s_waitcnt vmcnt(0)
	v_mul_f64 v[16:17], v[14:15], v[31:32]
	v_mul_f64 v[31:32], v[12:13], v[31:32]
	v_fma_f64 v[12:13], v[12:13], v[29:30], -v[16:17]
	v_fma_f64 v[14:15], v[14:15], v[29:30], v[31:32]
	v_add_f64 v[12:13], v[0:1], v[12:13]
	v_add_f64 v[14:15], v[2:3], v[14:15]
.LBB2_17:                               ;   in Loop: Header=BB2_10 Depth=1
	s_andn2_b32 vcc_lo, exec_lo, s21
	s_cbranch_vccnz .LBB2_19
; %bb.18:                               ;   in Loop: Header=BB2_10 Depth=1
	v_ashrrev_i32_e32 v7, 31, v6
	v_lshlrev_b64 v[12:13], 4, v[6:7]
	v_add_co_u32 v7, vcc_lo, v23, v12
	v_add_co_ci_u32_e64 v10, null, v24, v13, vcc_lo
	v_add_co_u32 v16, vcc_lo, v7, s4
	v_add_co_ci_u32_e64 v17, null, s5, v10, vcc_lo
	global_load_dwordx4 v[12:15], v[8:9], off offset:-8
	global_load_dwordx2 v[16:17], v[16:17], off
	s_waitcnt vmcnt(0)
	v_fma_f64 v[12:13], v[16:17], v[12:13], v[0:1]
	v_fma_f64 v[14:15], v[16:17], v[14:15], v[2:3]
.LBB2_19:                               ;   in Loop: Header=BB2_10 Depth=1
	v_mov_b32_e32 v2, v14
	v_mov_b32_e32 v0, v12
	;; [unrolled: 1-line block ×4, first 2 shown]
.LBB2_20:                               ;   in Loop: Header=BB2_10 Depth=1
	s_or_b32 exec_lo, exec_lo, s20
.LBB2_21:                               ;   in Loop: Header=BB2_10 Depth=1
	s_andn2_saveexec_b32 s19, s19
	s_cbranch_execz .LBB2_27
; %bb.22:                               ;   in Loop: Header=BB2_10 Depth=1
	v_add_co_u32 v12, vcc_lo, v25, s4
	v_add_co_ci_u32_e64 v13, null, s5, v26, vcc_lo
	s_andn2_b32 vcc_lo, exec_lo, s33
	s_mov_b32 s20, -1
                                        ; implicit-def: $vgpr16_vgpr17
                                        ; implicit-def: $vgpr14_vgpr15
	s_cbranch_vccnz .LBB2_24
; %bb.23:                               ;   in Loop: Header=BB2_10 Depth=1
	global_load_dwordx2 v[29:30], v[12:13], off offset:-8
	global_load_dwordx4 v[14:17], v[8:9], off offset:-8
	s_mov_b32 s20, 0
	s_waitcnt vmcnt(0)
	v_fma_f64 v[14:15], v[29:30], v[14:15], v[0:1]
	v_fma_f64 v[16:17], v[29:30], v[16:17], v[2:3]
.LBB2_24:                               ;   in Loop: Header=BB2_10 Depth=1
	s_andn2_b32 vcc_lo, exec_lo, s20
	s_cbranch_vccnz .LBB2_26
; %bb.25:                               ;   in Loop: Header=BB2_10 Depth=1
	global_load_dwordx4 v[14:17], v[8:9], off offset:-8
	global_load_dwordx4 v[29:32], v[12:13], off offset:-8
	s_waitcnt vmcnt(0)
	v_mul_f64 v[12:13], v[16:17], v[31:32]
	v_mul_f64 v[31:32], v[14:15], v[31:32]
	v_fma_f64 v[12:13], v[14:15], v[29:30], -v[12:13]
	v_fma_f64 v[16:17], v[16:17], v[29:30], v[31:32]
	v_add_f64 v[14:15], v[0:1], v[12:13]
	v_add_f64 v[16:17], v[2:3], v[16:17]
.LBB2_26:                               ;   in Loop: Header=BB2_10 Depth=1
	v_mov_b32_e32 v2, v16
	v_mov_b32_e32 v0, v14
	;; [unrolled: 1-line block ×4, first 2 shown]
.LBB2_27:                               ;   in Loop: Header=BB2_10 Depth=1
	s_or_b32 exec_lo, exec_lo, s19
.LBB2_28:                               ;   in Loop: Header=BB2_10 Depth=1
	s_andn2_saveexec_b32 s2, s2
	s_cbranch_execz .LBB2_30
; %bb.29:                               ;   in Loop: Header=BB2_10 Depth=1
	v_lshlrev_b64 v[12:13], 4, v[10:11]
	v_add_co_u32 v7, vcc_lo, v25, s4
	v_add_co_ci_u32_e64 v10, null, s5, v26, vcc_lo
	v_add_co_u32 v16, vcc_lo, v7, v12
	v_add_co_ci_u32_e64 v17, null, v10, v13, vcc_lo
	global_load_dwordx4 v[12:15], v[8:9], off offset:-8
	global_load_dwordx4 v[29:32], v[16:17], off offset:-8
	s_waitcnt vmcnt(0)
	v_mul_f64 v[16:17], v[14:15], v[31:32]
	v_mul_f64 v[31:32], v[12:13], v[31:32]
	v_fma_f64 v[12:13], v[12:13], v[29:30], -v[16:17]
	v_fma_f64 v[14:15], v[14:15], v[29:30], v[31:32]
	v_add_f64 v[0:1], v[0:1], v[12:13]
	v_add_f64 v[2:3], v[2:3], v[14:15]
.LBB2_30:                               ;   in Loop: Header=BB2_10 Depth=1
	s_or_b32 exec_lo, exec_lo, s2
.LBB2_31:                               ;   in Loop: Header=BB2_10 Depth=1
	s_andn2_saveexec_b32 s18, s18
	s_cbranch_execz .LBB2_8
; %bb.32:                               ;   in Loop: Header=BB2_10 Depth=1
	v_add_nc_u32_e32 v10, v5, v19
	v_cmp_ge_i32_e32 vcc_lo, s50, v10
	v_cmp_lt_i32_e64 s2, -1, v10
	s_and_b32 s19, vcc_lo, s2
	s_and_saveexec_b32 s2, s19
	s_cbranch_execz .LBB2_7
; %bb.33:                               ;   in Loop: Header=BB2_10 Depth=1
	v_lshlrev_b64 v[12:13], 4, v[10:11]
	v_add_co_u32 v16, vcc_lo, v21, v12
	v_add_co_ci_u32_e64 v17, null, v22, v13, vcc_lo
	global_load_dwordx4 v[12:15], v[8:9], off offset:-8
	global_load_dwordx4 v[29:32], v[16:17], off
	s_waitcnt vmcnt(0)
	v_mul_f64 v[16:17], v[31:32], v[14:15]
	v_mul_f64 v[31:32], v[31:32], v[12:13]
	v_fma_f64 v[12:13], v[29:30], v[12:13], v[16:17]
	v_fma_f64 v[14:15], v[29:30], v[14:15], -v[31:32]
	v_add_f64 v[0:1], v[0:1], v[12:13]
	v_add_f64 v[2:3], v[2:3], v[14:15]
	s_branch .LBB2_7
.LBB2_34:
	s_or_b32 exec_lo, exec_lo, s17
.LBB2_35:
	s_or_b32 exec_lo, exec_lo, s27
	v_lshlrev_b32_e32 v4, 4, v18
	ds_write_b128 v4, v[0:3]
	s_waitcnt lgkmcnt(0)
	s_barrier
	buffer_gl0_inv
.LBB2_36:
	s_mov_b32 s0, exec_lo
	v_cmpx_gt_u32_e32 64, v18
	s_cbranch_execz .LBB2_51
; %bb.37:
	s_waitcnt lgkmcnt(0)
	s_mul_i32 s1, s47, s7
	s_mul_hi_u32 s2, s46, s7
	s_mul_i32 s0, s46, s7
	s_add_i32 s1, s2, s1
	v_lshl_or_b32 v10, s6, 6, v18
	s_lshl_b64 s[0:1], s[0:1], 4
	s_xor_b32 s4, s26, -1
	s_add_u32 s0, s28, s0
	s_addc_u32 s5, s29, s1
	s_lshl_b64 s[2:3], s[30:31], 4
	s_add_u32 s1, s0, s2
	v_cmp_gt_i32_e64 s0, s49, v10
	s_addc_u32 s2, s5, s3
	s_and_b32 vcc_lo, exec_lo, s4
	s_cbranch_vccz .LBB2_43
; %bb.38:
	s_mov_b32 s4, 0
	s_mov_b32 s3, 0
                                        ; implicit-def: $vgpr2_vgpr3
                                        ; implicit-def: $vgpr8_vgpr9
	s_and_saveexec_b32 s5, s0
	s_xor_b32 s0, exec_lo, s5
	s_cbranch_execz .LBB2_42
; %bb.39:
	v_cmp_neq_f64_e64 s3, s[36:37], 0
	v_cmp_neq_f64_e64 s5, s[38:39], 0
	v_ashrrev_i32_e32 v0, 31, v10
	v_mul_lo_u32 v4, s45, v10
	v_mad_u64_u32 v[8:9], null, s44, v10, 0
	v_mov_b32_e32 v2, 0
	v_mul_lo_u32 v5, s44, v0
	v_mov_b32_e32 v0, 0
	v_mov_b32_e32 v3, 0
	;; [unrolled: 1-line block ×3, first 2 shown]
	v_add3_u32 v9, v9, v5, v4
	s_or_b32 s3, s3, s5
	s_andn2_b32 vcc_lo, exec_lo, s3
	s_cbranch_vccnz .LBB2_41
; %bb.40:
	v_lshlrev_b64 v[0:1], 4, v[8:9]
	v_add_co_u32 v0, vcc_lo, s1, v0
	v_add_co_ci_u32_e64 v1, null, s2, v1, vcc_lo
	global_load_dwordx4 v[2:5], v[0:1], off
	s_waitcnt vmcnt(0)
	v_mul_f64 v[0:1], s[38:39], v[4:5]
	v_mul_f64 v[4:5], s[36:37], v[4:5]
	v_fma_f64 v[0:1], s[36:37], v[2:3], -v[0:1]
	v_fma_f64 v[2:3], s[38:39], v[2:3], v[4:5]
.LBB2_41:
	s_mov_b32 s3, exec_lo
.LBB2_42:
	s_or_b32 exec_lo, exec_lo, s0
	s_and_b32 vcc_lo, exec_lo, s4
	s_cbranch_vccnz .LBB2_44
	s_branch .LBB2_49
.LBB2_43:
	s_mov_b32 s3, 0
                                        ; implicit-def: $vgpr2_vgpr3
                                        ; implicit-def: $vgpr8_vgpr9
	s_cbranch_execz .LBB2_49
.LBB2_44:
	v_lshlrev_b32_e32 v13, 4, v18
	s_mov_b32 s0, exec_lo
	ds_read_b128 v[0:3], v13
	ds_read_b128 v[4:7], v13 offset:1024
	s_waitcnt lgkmcnt(0)
	v_add_f64 v[8:9], v[0:1], v[4:5]
	v_add_f64 v[11:12], v[2:3], v[6:7]
	ds_read_b128 v[0:3], v13 offset:2048
	ds_read_b128 v[4:7], v13 offset:3072
	s_waitcnt lgkmcnt(1)
	v_add_f64 v[0:1], v[8:9], v[0:1]
	v_add_f64 v[2:3], v[11:12], v[2:3]
	s_waitcnt lgkmcnt(0)
	v_add_f64 v[8:9], v[0:1], v[4:5]
	v_add_f64 v[11:12], v[2:3], v[6:7]
	ds_read_b128 v[0:3], v13 offset:4096
	ds_read_b128 v[4:7], v13 offset:5120
	s_waitcnt lgkmcnt(1)
	v_add_f64 v[0:1], v[8:9], v[0:1]
	v_add_f64 v[2:3], v[11:12], v[2:3]
	s_waitcnt lgkmcnt(0)
	v_add_f64 v[8:9], v[0:1], v[4:5]
	v_add_f64 v[11:12], v[2:3], v[6:7]
	ds_read_b128 v[0:3], v13 offset:6144
	ds_read_b128 v[4:7], v13 offset:7168
	s_waitcnt lgkmcnt(1)
	v_add_f64 v[0:1], v[8:9], v[0:1]
	v_add_f64 v[2:3], v[11:12], v[2:3]
	s_waitcnt lgkmcnt(0)
	v_add_f64 v[8:9], v[0:1], v[4:5]
	v_add_f64 v[11:12], v[2:3], v[6:7]
	ds_read_b128 v[0:3], v13 offset:8192
	ds_read_b128 v[4:7], v13 offset:9216
	s_waitcnt lgkmcnt(1)
	v_add_f64 v[0:1], v[8:9], v[0:1]
	v_add_f64 v[2:3], v[11:12], v[2:3]
	s_waitcnt lgkmcnt(0)
	v_add_f64 v[8:9], v[0:1], v[4:5]
	v_add_f64 v[11:12], v[2:3], v[6:7]
	ds_read_b128 v[0:3], v13 offset:10240
	ds_read_b128 v[4:7], v13 offset:11264
	s_waitcnt lgkmcnt(1)
	v_add_f64 v[0:1], v[8:9], v[0:1]
	v_add_f64 v[2:3], v[11:12], v[2:3]
	s_waitcnt lgkmcnt(0)
	v_add_f64 v[8:9], v[0:1], v[4:5]
	v_add_f64 v[11:12], v[2:3], v[6:7]
	ds_read_b128 v[0:3], v13 offset:12288
	ds_read_b128 v[4:7], v13 offset:13312
	s_waitcnt lgkmcnt(1)
	v_add_f64 v[0:1], v[8:9], v[0:1]
	v_add_f64 v[2:3], v[11:12], v[2:3]
	s_waitcnt lgkmcnt(0)
	v_add_f64 v[8:9], v[0:1], v[4:5]
	v_add_f64 v[11:12], v[2:3], v[6:7]
	ds_read_b128 v[0:3], v13 offset:14336
	ds_read_b128 v[4:7], v13 offset:15360
	s_waitcnt lgkmcnt(1)
	v_add_f64 v[0:1], v[8:9], v[0:1]
	v_add_f64 v[2:3], v[11:12], v[2:3]
                                        ; implicit-def: $vgpr8_vgpr9
	s_waitcnt lgkmcnt(0)
	v_add_f64 v[4:5], v[0:1], v[4:5]
	v_add_f64 v[6:7], v[2:3], v[6:7]
                                        ; implicit-def: $vgpr2_vgpr3
	ds_write_b128 v13, v[4:7]
	v_cmpx_gt_i32_e64 s49, v10
	s_cbranch_execz .LBB2_48
; %bb.45:
	v_mul_f64 v[0:1], s[42:43], v[6:7]
	v_mul_f64 v[2:3], s[40:41], v[6:7]
	v_cmp_neq_f64_e64 s4, s[36:37], 0
	v_cmp_neq_f64_e64 s5, s[38:39], 0
	v_mad_u64_u32 v[8:9], null, s44, v10, 0
	v_fma_f64 v[0:1], s[40:41], v[4:5], -v[0:1]
	v_fma_f64 v[2:3], s[42:43], v[4:5], v[2:3]
	v_ashrrev_i32_e32 v4, 31, v10
	v_mul_lo_u32 v5, s45, v10
	s_or_b32 s4, s4, s5
	s_andn2_b32 vcc_lo, exec_lo, s4
	v_mul_lo_u32 v4, s44, v4
	v_add3_u32 v9, v9, v4, v5
	s_cbranch_vccnz .LBB2_47
; %bb.46:
	v_lshlrev_b64 v[4:5], 4, v[8:9]
	v_add_co_u32 v4, vcc_lo, s1, v4
	v_add_co_ci_u32_e64 v5, null, s2, v5, vcc_lo
	global_load_dwordx4 v[4:7], v[4:5], off
	s_waitcnt vmcnt(0)
	v_mul_f64 v[10:11], s[38:39], v[6:7]
	v_mul_f64 v[6:7], s[36:37], v[6:7]
	v_fma_f64 v[10:11], s[36:37], v[4:5], -v[10:11]
	v_fma_f64 v[4:5], s[38:39], v[4:5], v[6:7]
	v_add_f64 v[0:1], v[0:1], v[10:11]
	v_add_f64 v[2:3], v[2:3], v[4:5]
.LBB2_47:
	s_or_b32 s3, s3, exec_lo
.LBB2_48:
	s_or_b32 exec_lo, exec_lo, s0
.LBB2_49:
	s_and_b32 exec_lo, exec_lo, s3
	s_cbranch_execz .LBB2_51
; %bb.50:
	v_lshlrev_b64 v[4:5], 4, v[8:9]
	v_add_co_u32 v4, vcc_lo, s1, v4
	v_add_co_ci_u32_e64 v5, null, s2, v5, vcc_lo
	global_store_dwordx4 v[4:5], v[0:3], off
.LBB2_51:
	s_endpgm
	.section	.rodata,"a",@progbits
	.p2align	6, 0x0
	.amdhsa_kernel _ZL20rocblas_hbmvn_kernelILi64ELi16EPK19rocblas_complex_numIdES3_PS1_EvbiiT1_T2_lllS6_lllS5_T3_llli
		.amdhsa_group_segment_fixed_size 16384
		.amdhsa_private_segment_fixed_size 0
		.amdhsa_kernarg_size 392
		.amdhsa_user_sgpr_count 6
		.amdhsa_user_sgpr_private_segment_buffer 1
		.amdhsa_user_sgpr_dispatch_ptr 0
		.amdhsa_user_sgpr_queue_ptr 0
		.amdhsa_user_sgpr_kernarg_segment_ptr 1
		.amdhsa_user_sgpr_dispatch_id 0
		.amdhsa_user_sgpr_flat_scratch_init 0
		.amdhsa_user_sgpr_private_segment_size 0
		.amdhsa_wavefront_size32 1
		.amdhsa_uses_dynamic_stack 0
		.amdhsa_system_sgpr_private_segment_wavefront_offset 0
		.amdhsa_system_sgpr_workgroup_id_x 1
		.amdhsa_system_sgpr_workgroup_id_y 0
		.amdhsa_system_sgpr_workgroup_id_z 1
		.amdhsa_system_sgpr_workgroup_info 0
		.amdhsa_system_vgpr_workitem_id 1
		.amdhsa_next_free_vgpr 33
		.amdhsa_next_free_sgpr 54
		.amdhsa_reserve_vcc 1
		.amdhsa_reserve_flat_scratch 0
		.amdhsa_float_round_mode_32 0
		.amdhsa_float_round_mode_16_64 0
		.amdhsa_float_denorm_mode_32 3
		.amdhsa_float_denorm_mode_16_64 3
		.amdhsa_dx10_clamp 1
		.amdhsa_ieee_mode 1
		.amdhsa_fp16_overflow 0
		.amdhsa_workgroup_processor_mode 1
		.amdhsa_memory_ordered 1
		.amdhsa_forward_progress 1
		.amdhsa_shared_vgpr_count 0
		.amdhsa_exception_fp_ieee_invalid_op 0
		.amdhsa_exception_fp_denorm_src 0
		.amdhsa_exception_fp_ieee_div_zero 0
		.amdhsa_exception_fp_ieee_overflow 0
		.amdhsa_exception_fp_ieee_underflow 0
		.amdhsa_exception_fp_ieee_inexact 0
		.amdhsa_exception_int_div_zero 0
	.end_amdhsa_kernel
	.section	.text._ZL20rocblas_hbmvn_kernelILi64ELi16EPK19rocblas_complex_numIdES3_PS1_EvbiiT1_T2_lllS6_lllS5_T3_llli,"axG",@progbits,_ZL20rocblas_hbmvn_kernelILi64ELi16EPK19rocblas_complex_numIdES3_PS1_EvbiiT1_T2_lllS6_lllS5_T3_llli,comdat
.Lfunc_end2:
	.size	_ZL20rocblas_hbmvn_kernelILi64ELi16EPK19rocblas_complex_numIdES3_PS1_EvbiiT1_T2_lllS6_lllS5_T3_llli, .Lfunc_end2-_ZL20rocblas_hbmvn_kernelILi64ELi16EPK19rocblas_complex_numIdES3_PS1_EvbiiT1_T2_lllS6_lllS5_T3_llli
                                        ; -- End function
	.set _ZL20rocblas_hbmvn_kernelILi64ELi16EPK19rocblas_complex_numIdES3_PS1_EvbiiT1_T2_lllS6_lllS5_T3_llli.num_vgpr, 33
	.set _ZL20rocblas_hbmvn_kernelILi64ELi16EPK19rocblas_complex_numIdES3_PS1_EvbiiT1_T2_lllS6_lllS5_T3_llli.num_agpr, 0
	.set _ZL20rocblas_hbmvn_kernelILi64ELi16EPK19rocblas_complex_numIdES3_PS1_EvbiiT1_T2_lllS6_lllS5_T3_llli.numbered_sgpr, 54
	.set _ZL20rocblas_hbmvn_kernelILi64ELi16EPK19rocblas_complex_numIdES3_PS1_EvbiiT1_T2_lllS6_lllS5_T3_llli.num_named_barrier, 0
	.set _ZL20rocblas_hbmvn_kernelILi64ELi16EPK19rocblas_complex_numIdES3_PS1_EvbiiT1_T2_lllS6_lllS5_T3_llli.private_seg_size, 0
	.set _ZL20rocblas_hbmvn_kernelILi64ELi16EPK19rocblas_complex_numIdES3_PS1_EvbiiT1_T2_lllS6_lllS5_T3_llli.uses_vcc, 1
	.set _ZL20rocblas_hbmvn_kernelILi64ELi16EPK19rocblas_complex_numIdES3_PS1_EvbiiT1_T2_lllS6_lllS5_T3_llli.uses_flat_scratch, 0
	.set _ZL20rocblas_hbmvn_kernelILi64ELi16EPK19rocblas_complex_numIdES3_PS1_EvbiiT1_T2_lllS6_lllS5_T3_llli.has_dyn_sized_stack, 0
	.set _ZL20rocblas_hbmvn_kernelILi64ELi16EPK19rocblas_complex_numIdES3_PS1_EvbiiT1_T2_lllS6_lllS5_T3_llli.has_recursion, 0
	.set _ZL20rocblas_hbmvn_kernelILi64ELi16EPK19rocblas_complex_numIdES3_PS1_EvbiiT1_T2_lllS6_lllS5_T3_llli.has_indirect_call, 0
	.section	.AMDGPU.csdata,"",@progbits
; Kernel info:
; codeLenInByte = 2588
; TotalNumSgprs: 56
; NumVgprs: 33
; ScratchSize: 0
; MemoryBound: 1
; FloatMode: 240
; IeeeMode: 1
; LDSByteSize: 16384 bytes/workgroup (compile time only)
; SGPRBlocks: 0
; VGPRBlocks: 4
; NumSGPRsForWavesPerEU: 56
; NumVGPRsForWavesPerEU: 33
; Occupancy: 16
; WaveLimiterHint : 0
; COMPUTE_PGM_RSRC2:SCRATCH_EN: 0
; COMPUTE_PGM_RSRC2:USER_SGPR: 6
; COMPUTE_PGM_RSRC2:TRAP_HANDLER: 0
; COMPUTE_PGM_RSRC2:TGID_X_EN: 1
; COMPUTE_PGM_RSRC2:TGID_Y_EN: 0
; COMPUTE_PGM_RSRC2:TGID_Z_EN: 1
; COMPUTE_PGM_RSRC2:TIDIG_COMP_CNT: 1
	.section	.text._ZL20rocblas_hbmvn_kernelILi64ELi16E19rocblas_complex_numIdEPKS1_PS1_EvbiiT1_T2_lllS6_lllS5_T3_llli,"axG",@progbits,_ZL20rocblas_hbmvn_kernelILi64ELi16E19rocblas_complex_numIdEPKS1_PS1_EvbiiT1_T2_lllS6_lllS5_T3_llli,comdat
	.globl	_ZL20rocblas_hbmvn_kernelILi64ELi16E19rocblas_complex_numIdEPKS1_PS1_EvbiiT1_T2_lllS6_lllS5_T3_llli ; -- Begin function _ZL20rocblas_hbmvn_kernelILi64ELi16E19rocblas_complex_numIdEPKS1_PS1_EvbiiT1_T2_lllS6_lllS5_T3_llli
	.p2align	8
	.type	_ZL20rocblas_hbmvn_kernelILi64ELi16E19rocblas_complex_numIdEPKS1_PS1_EvbiiT1_T2_lllS6_lllS5_T3_llli,@function
_ZL20rocblas_hbmvn_kernelILi64ELi16E19rocblas_complex_numIdEPKS1_PS1_EvbiiT1_T2_lllS6_lllS5_T3_llli: ; @_ZL20rocblas_hbmvn_kernelILi64ELi16E19rocblas_complex_numIdEPKS1_PS1_EvbiiT1_T2_lllS6_lllS5_T3_llli
; %bb.0:
	s_load_dwordx2 s[0:1], s[4:5], 0xa4
	s_waitcnt lgkmcnt(0)
	s_lshr_b32 s2, s0, 16
	s_and_b32 s0, s0, 0xffff
	s_and_b32 s1, s1, 0xffff
	s_mul_i32 s2, s2, s0
	s_mul_i32 s2, s2, s1
	s_cmpk_lg_i32 s2, 0x400
	s_cbranch_scc1 .LBB3_51
; %bb.1:
	s_clause 0x1
	s_load_dwordx16 s[36:51], s[4:5], 0x10
	s_load_dwordx16 s[8:23], s[4:5], 0x50
	s_waitcnt lgkmcnt(0)
	v_cmp_neq_f64_e64 s1, s[36:37], 0
	v_cmp_neq_f64_e64 s2, s[38:39], 0
	s_or_b32 s30, s1, s2
	s_mov_b32 s1, -1
	s_and_b32 vcc_lo, exec_lo, s30
	s_cbranch_vccnz .LBB3_3
; %bb.2:
	v_cmp_neq_f64_e64 s1, s[12:13], 1.0
	v_cmp_neq_f64_e64 s2, s[14:15], 0
	s_or_b32 s1, s1, s2
.LBB3_3:
	s_andn2_b32 vcc_lo, exec_lo, s1
	s_cbranch_vccnz .LBB3_51
; %bb.4:
	s_load_dwordx4 s[24:27], s[4:5], 0x0
	v_mad_u32_u24 v18, v1, s0, v0
	s_andn2_b32 vcc_lo, exec_lo, s30
	s_cbranch_vccnz .LBB3_36
; %bb.5:
	v_mov_b32_e32 v2, 0
	v_mov_b32_e32 v0, 0
	v_lshrrev_b32_e32 v19, 6, v18
	v_mov_b32_e32 v3, 0
	v_mov_b32_e32 v1, 0
	s_waitcnt lgkmcnt(0)
	s_mov_b32 s27, exec_lo
	v_cmpx_gt_i32_e64 s25, v19
	s_cbranch_execz .LBB3_35
; %bb.6:
	s_mul_i32 s0, s47, s7
	s_mul_hi_u32 s1, s46, s7
	v_and_b32_e32 v9, 63, v18
	s_add_i32 s1, s1, s0
	s_mul_i32 s0, s46, s7
	s_lshl_b32 s34, s6, 6
	s_lshl_b64 s[2:3], s[0:1], 4
	v_or_b32_e32 v4, s34, v9
	s_add_u32 s35, s40, s2
	s_addc_u32 s46, s41, s3
	s_lshl_b64 s[4:5], s[42:43], 4
	v_add3_u32 v2, s26, s34, v9
	s_add_u32 s42, s35, s4
	s_addc_u32 s43, s46, s5
	s_bitcmp1_b32 s24, 0
	v_mad_u64_u32 v[0:1], null, s8, v19, 0
	s_cselect_b32 s0, -1, 0
	v_sub_nc_u32_e32 v6, v2, v19
	v_mad_u64_u32 v[2:3], null, s44, v4, 0
	v_ashrrev_i32_e32 v5, 31, v4
	s_and_b32 s1, s0, exec_lo
	s_cselect_b32 s47, s26, 0
	s_xor_b32 s24, s0, -1
	v_sub_nc_u32_e32 v7, v4, v19
	s_cmp_eq_u32 s26, 0
	v_mul_lo_u32 v10, s44, v5
	s_cselect_b32 s28, -1, 0
	v_mul_lo_u32 v11, s45, v4
	s_or_b32 s33, s24, s28
	s_mul_i32 s11, s11, s7
	s_mul_hi_u32 s28, s10, s7
	v_cndmask_b32_e64 v20, v7, v6, s0
	v_mad_u64_u32 v[7:8], null, s9, v19, v[1:2]
	s_add_i32 s11, s28, s11
	s_mul_i32 s10, s10, s7
	v_mad_u64_u32 v[12:13], null, s44, v19, 0
	s_lshl_b64 s[28:29], s[50:51], 4
	s_lshl_b64 s[10:11], s[10:11], 4
	s_add_u32 s28, s48, s28
	s_addc_u32 s29, s49, s29
	v_add3_u32 v3, v3, v10, v11
	s_add_u32 s48, s28, s10
	s_addc_u32 s49, s29, s11
	s_lshl_b64 s[28:29], s[44:45], 4
	v_mov_b32_e32 v1, v7
	s_lshl_b64 s[8:9], s[8:9], 8
	s_lshl_b64 s[10:11], s[44:45], 8
	s_add_u32 s28, s28, -16
	v_mov_b32_e32 v7, v13
	v_lshlrev_b64 v[2:3], 4, v[2:3]
	v_mad_u64_u32 v[10:11], null, v19, s28, s[2:3]
	v_lshlrev_b64 v[0:1], 4, v[0:1]
	v_mad_u64_u32 v[7:8], null, s45, v19, v[7:8]
	v_add_co_u32 v21, vcc_lo, s42, v2
	v_add_co_ci_u32_e64 v22, null, s43, v3, vcc_lo
	v_add_co_u32 v3, vcc_lo, s48, v0
	v_mov_b32_e32 v0, v11
	s_addc_u32 s2, s29, -1
	v_mov_b32_e32 v13, v7
	v_add_co_ci_u32_e64 v14, null, s49, v1, vcc_lo
	v_mad_u64_u32 v[0:1], null, v19, s2, v[0:1]
	v_lshlrev_b64 v[1:2], 4, v[4:5]
	v_lshlrev_b64 v[12:13], 4, v[12:13]
	v_add_co_u32 v8, vcc_lo, v3, 8
	v_sub_nc_u32_e32 v11, s47, v9
	v_add_co_ci_u32_e64 v9, null, 0, v14, vcc_lo
	v_add_co_u32 v1, vcc_lo, v10, v1
	v_add_co_ci_u32_e64 v0, null, v0, v2, vcc_lo
	v_add_co_u32 v23, vcc_lo, s35, v12
	v_add_co_ci_u32_e64 v24, null, s46, v13, vcc_lo
	v_add_co_u32 v1, vcc_lo, s40, v1
	v_add_co_ci_u32_e64 v0, null, s41, v0, vcc_lo
	v_add_co_u32 v25, vcc_lo, v23, 8
	v_add_co_ci_u32_e64 v26, null, 0, v24, vcc_lo
	v_add_co_u32 v27, vcc_lo, v1, 8
	v_add_co_ci_u32_e64 v28, null, 0, v0, vcc_lo
	v_mov_b32_e32 v2, 0
	v_mov_b32_e32 v0, 0
	v_cmp_gt_i32_e64 s1, s25, v4
	v_subrev_nc_u32_e32 v5, s34, v11
	v_mov_b32_e32 v11, 0
	v_mov_b32_e32 v3, 0
	;; [unrolled: 1-line block ×3, first 2 shown]
	s_add_u32 s3, s10, 0xffffff00
	s_mov_b32 s31, 0
	s_addc_u32 s34, s11, -1
	s_mov_b64 s[28:29], 0
	s_branch .LBB3_10
.LBB3_7:                                ;   in Loop: Header=BB3_10 Depth=1
	s_or_b32 exec_lo, exec_lo, s2
.LBB3_8:                                ;   in Loop: Header=BB3_10 Depth=1
	s_or_b32 exec_lo, exec_lo, s40
.LBB3_9:                                ;   in Loop: Header=BB3_10 Depth=1
	s_or_b32 exec_lo, exec_lo, s35
	v_add_co_u32 v8, vcc_lo, v8, s8
	v_add_nc_u32_e32 v19, 16, v19
	v_add_co_ci_u32_e64 v9, null, s9, v9, vcc_lo
	v_add_co_u32 v25, vcc_lo, v25, s10
	v_add_co_ci_u32_e64 v26, null, s11, v26, vcc_lo
	v_add_co_u32 v23, vcc_lo, v23, s10
	v_add_co_ci_u32_e64 v24, null, s11, v24, vcc_lo
	v_cmp_le_i32_e32 vcc_lo, s25, v19
	v_add_co_u32 v27, s2, v27, s3
	v_add_nc_u32_e32 v6, -16, v6
	v_add_co_ci_u32_e64 v28, null, s34, v28, s2
	s_add_u32 s28, s28, -16
	s_addc_u32 s29, s29, -1
	s_or_b32 s31, vcc_lo, s31
	s_andn2_b32 exec_lo, exec_lo, s31
	s_cbranch_execz .LBB3_34
.LBB3_10:                               ; =>This Inner Loop Header: Depth=1
	s_and_saveexec_b32 s35, s1
	s_cbranch_execz .LBB3_9
; %bb.11:                               ;   in Loop: Header=BB3_10 Depth=1
	v_cmp_gt_i32_e32 vcc_lo, v4, v19
	v_cndmask_b32_e64 v7, 0, 1, vcc_lo
	v_cmp_lt_i32_e32 vcc_lo, v4, v19
	v_cndmask_b32_e64 v10, 0, 1, vcc_lo
	v_cndmask_b32_e64 v7, v10, v7, s0
	v_and_b32_e32 v7, 1, v7
	v_cmp_eq_u32_e32 vcc_lo, 1, v7
	s_xor_b32 s2, vcc_lo, -1
	s_and_saveexec_b32 s40, s2
	s_xor_b32 s40, exec_lo, s40
	s_cbranch_execz .LBB3_31
; %bb.12:                               ;   in Loop: Header=BB3_10 Depth=1
	v_add_nc_u32_e32 v10, s28, v20
	v_cmp_le_i32_e32 vcc_lo, s26, v10
	v_cmp_gt_i32_e64 s2, 1, v10
	s_or_b32 s2, vcc_lo, s2
	s_and_saveexec_b32 s41, s2
	s_xor_b32 s2, exec_lo, s41
	s_cbranch_execz .LBB3_28
; %bb.13:                               ;   in Loop: Header=BB3_10 Depth=1
	s_mov_b32 s41, exec_lo
	v_cmpx_ne_u32_e32 0, v10
	s_xor_b32 s41, exec_lo, s41
	s_cbranch_execz .LBB3_21
; %bb.14:                               ;   in Loop: Header=BB3_10 Depth=1
	s_mov_b32 s42, exec_lo
	v_cmpx_eq_u32_e64 s26, v10
	s_cbranch_execz .LBB3_20
; %bb.15:                               ;   in Loop: Header=BB3_10 Depth=1
	s_and_b32 vcc_lo, exec_lo, s24
	s_mov_b32 s43, -1
                                        ; implicit-def: $vgpr14_vgpr15
                                        ; implicit-def: $vgpr12_vgpr13
	s_cbranch_vccz .LBB3_17
; %bb.16:                               ;   in Loop: Header=BB3_10 Depth=1
	v_add_co_u32 v16, vcc_lo, v27, s4
	v_add_co_ci_u32_e64 v17, null, s5, v28, vcc_lo
	s_mov_b32 s43, 0
	global_load_dwordx4 v[12:15], v[8:9], off offset:-8
	global_load_dwordx4 v[29:32], v[16:17], off offset:-8
	s_waitcnt vmcnt(0)
	v_mul_f64 v[16:17], v[14:15], v[31:32]
	v_mul_f64 v[31:32], v[12:13], v[31:32]
	v_fma_f64 v[12:13], v[12:13], v[29:30], -v[16:17]
	v_fma_f64 v[14:15], v[14:15], v[29:30], v[31:32]
	v_add_f64 v[12:13], v[0:1], v[12:13]
	v_add_f64 v[14:15], v[2:3], v[14:15]
.LBB3_17:                               ;   in Loop: Header=BB3_10 Depth=1
	s_andn2_b32 vcc_lo, exec_lo, s43
	s_cbranch_vccnz .LBB3_19
; %bb.18:                               ;   in Loop: Header=BB3_10 Depth=1
	v_ashrrev_i32_e32 v7, 31, v6
	v_lshlrev_b64 v[12:13], 4, v[6:7]
	v_add_co_u32 v7, vcc_lo, v23, v12
	v_add_co_ci_u32_e64 v10, null, v24, v13, vcc_lo
	v_add_co_u32 v16, vcc_lo, v7, s4
	v_add_co_ci_u32_e64 v17, null, s5, v10, vcc_lo
	global_load_dwordx4 v[12:15], v[8:9], off offset:-8
	global_load_dwordx2 v[16:17], v[16:17], off
	s_waitcnt vmcnt(0)
	v_fma_f64 v[12:13], v[16:17], v[12:13], v[0:1]
	v_fma_f64 v[14:15], v[16:17], v[14:15], v[2:3]
.LBB3_19:                               ;   in Loop: Header=BB3_10 Depth=1
	v_mov_b32_e32 v2, v14
	v_mov_b32_e32 v0, v12
	;; [unrolled: 1-line block ×4, first 2 shown]
.LBB3_20:                               ;   in Loop: Header=BB3_10 Depth=1
	s_or_b32 exec_lo, exec_lo, s42
.LBB3_21:                               ;   in Loop: Header=BB3_10 Depth=1
	s_andn2_saveexec_b32 s41, s41
	s_cbranch_execz .LBB3_27
; %bb.22:                               ;   in Loop: Header=BB3_10 Depth=1
	v_add_co_u32 v12, vcc_lo, v25, s4
	v_add_co_ci_u32_e64 v13, null, s5, v26, vcc_lo
	s_andn2_b32 vcc_lo, exec_lo, s33
	s_mov_b32 s42, -1
                                        ; implicit-def: $vgpr16_vgpr17
                                        ; implicit-def: $vgpr14_vgpr15
	s_cbranch_vccnz .LBB3_24
; %bb.23:                               ;   in Loop: Header=BB3_10 Depth=1
	global_load_dwordx2 v[29:30], v[12:13], off offset:-8
	global_load_dwordx4 v[14:17], v[8:9], off offset:-8
	s_mov_b32 s42, 0
	s_waitcnt vmcnt(0)
	v_fma_f64 v[14:15], v[29:30], v[14:15], v[0:1]
	v_fma_f64 v[16:17], v[29:30], v[16:17], v[2:3]
.LBB3_24:                               ;   in Loop: Header=BB3_10 Depth=1
	s_andn2_b32 vcc_lo, exec_lo, s42
	s_cbranch_vccnz .LBB3_26
; %bb.25:                               ;   in Loop: Header=BB3_10 Depth=1
	global_load_dwordx4 v[14:17], v[8:9], off offset:-8
	global_load_dwordx4 v[29:32], v[12:13], off offset:-8
	s_waitcnt vmcnt(0)
	v_mul_f64 v[12:13], v[16:17], v[31:32]
	v_mul_f64 v[31:32], v[14:15], v[31:32]
	v_fma_f64 v[12:13], v[14:15], v[29:30], -v[12:13]
	v_fma_f64 v[16:17], v[16:17], v[29:30], v[31:32]
	v_add_f64 v[14:15], v[0:1], v[12:13]
	v_add_f64 v[16:17], v[2:3], v[16:17]
.LBB3_26:                               ;   in Loop: Header=BB3_10 Depth=1
	v_mov_b32_e32 v2, v16
	v_mov_b32_e32 v0, v14
	;; [unrolled: 1-line block ×4, first 2 shown]
.LBB3_27:                               ;   in Loop: Header=BB3_10 Depth=1
	s_or_b32 exec_lo, exec_lo, s41
.LBB3_28:                               ;   in Loop: Header=BB3_10 Depth=1
	s_andn2_saveexec_b32 s2, s2
	s_cbranch_execz .LBB3_30
; %bb.29:                               ;   in Loop: Header=BB3_10 Depth=1
	v_lshlrev_b64 v[12:13], 4, v[10:11]
	v_add_co_u32 v7, vcc_lo, v25, s4
	v_add_co_ci_u32_e64 v10, null, s5, v26, vcc_lo
	v_add_co_u32 v16, vcc_lo, v7, v12
	v_add_co_ci_u32_e64 v17, null, v10, v13, vcc_lo
	global_load_dwordx4 v[12:15], v[8:9], off offset:-8
	global_load_dwordx4 v[29:32], v[16:17], off offset:-8
	s_waitcnt vmcnt(0)
	v_mul_f64 v[16:17], v[14:15], v[31:32]
	v_mul_f64 v[31:32], v[12:13], v[31:32]
	v_fma_f64 v[12:13], v[12:13], v[29:30], -v[16:17]
	v_fma_f64 v[14:15], v[14:15], v[29:30], v[31:32]
	v_add_f64 v[0:1], v[0:1], v[12:13]
	v_add_f64 v[2:3], v[2:3], v[14:15]
.LBB3_30:                               ;   in Loop: Header=BB3_10 Depth=1
	s_or_b32 exec_lo, exec_lo, s2
.LBB3_31:                               ;   in Loop: Header=BB3_10 Depth=1
	s_andn2_saveexec_b32 s40, s40
	s_cbranch_execz .LBB3_8
; %bb.32:                               ;   in Loop: Header=BB3_10 Depth=1
	v_add_nc_u32_e32 v10, v5, v19
	v_cmp_ge_i32_e32 vcc_lo, s26, v10
	v_cmp_lt_i32_e64 s2, -1, v10
	s_and_b32 s41, vcc_lo, s2
	s_and_saveexec_b32 s2, s41
	s_cbranch_execz .LBB3_7
; %bb.33:                               ;   in Loop: Header=BB3_10 Depth=1
	v_lshlrev_b64 v[12:13], 4, v[10:11]
	v_add_co_u32 v16, vcc_lo, v21, v12
	v_add_co_ci_u32_e64 v17, null, v22, v13, vcc_lo
	global_load_dwordx4 v[12:15], v[8:9], off offset:-8
	global_load_dwordx4 v[29:32], v[16:17], off
	s_waitcnt vmcnt(0)
	v_mul_f64 v[16:17], v[31:32], v[14:15]
	v_mul_f64 v[31:32], v[31:32], v[12:13]
	v_fma_f64 v[12:13], v[29:30], v[12:13], v[16:17]
	v_fma_f64 v[14:15], v[29:30], v[14:15], -v[31:32]
	v_add_f64 v[0:1], v[0:1], v[12:13]
	v_add_f64 v[2:3], v[2:3], v[14:15]
	s_branch .LBB3_7
.LBB3_34:
	s_or_b32 exec_lo, exec_lo, s31
.LBB3_35:
	s_or_b32 exec_lo, exec_lo, s27
	v_lshlrev_b32_e32 v4, 4, v18
	ds_write_b128 v4, v[0:3]
	s_waitcnt lgkmcnt(0)
	s_barrier
	buffer_gl0_inv
.LBB3_36:
	s_mov_b32 s0, exec_lo
	v_cmpx_gt_u32_e32 64, v18
	s_cbranch_execz .LBB3_51
; %bb.37:
	s_mul_i32 s1, s23, s7
	s_mul_hi_u32 s2, s22, s7
	s_mul_i32 s0, s22, s7
	s_add_i32 s1, s2, s1
	v_lshl_or_b32 v10, s6, 6, v18
	s_lshl_b64 s[0:1], s[0:1], 4
	s_xor_b32 s4, s30, -1
	s_add_u32 s0, s16, s0
	s_addc_u32 s5, s17, s1
	s_lshl_b64 s[2:3], s[18:19], 4
	s_add_u32 s1, s0, s2
	s_waitcnt lgkmcnt(0)
	v_cmp_gt_i32_e64 s0, s25, v10
	s_addc_u32 s2, s5, s3
	s_and_b32 vcc_lo, exec_lo, s4
	s_cbranch_vccz .LBB3_43
; %bb.38:
	s_mov_b32 s4, 0
	s_mov_b32 s3, 0
                                        ; implicit-def: $vgpr2_vgpr3
                                        ; implicit-def: $vgpr8_vgpr9
	s_and_saveexec_b32 s5, s0
	s_xor_b32 s0, exec_lo, s5
	s_cbranch_execz .LBB3_42
; %bb.39:
	v_cmp_neq_f64_e64 s3, s[12:13], 0
	v_cmp_neq_f64_e64 s5, s[14:15], 0
	v_ashrrev_i32_e32 v0, 31, v10
	v_mul_lo_u32 v4, s21, v10
	v_mad_u64_u32 v[8:9], null, s20, v10, 0
	v_mov_b32_e32 v2, 0
	v_mul_lo_u32 v5, s20, v0
	v_mov_b32_e32 v0, 0
	v_mov_b32_e32 v3, 0
	;; [unrolled: 1-line block ×3, first 2 shown]
	v_add3_u32 v9, v9, v5, v4
	s_or_b32 s3, s3, s5
	s_andn2_b32 vcc_lo, exec_lo, s3
	s_cbranch_vccnz .LBB3_41
; %bb.40:
	v_lshlrev_b64 v[0:1], 4, v[8:9]
	v_add_co_u32 v0, vcc_lo, s1, v0
	v_add_co_ci_u32_e64 v1, null, s2, v1, vcc_lo
	global_load_dwordx4 v[2:5], v[0:1], off
	s_waitcnt vmcnt(0)
	v_mul_f64 v[0:1], s[14:15], v[4:5]
	v_mul_f64 v[4:5], s[12:13], v[4:5]
	v_fma_f64 v[0:1], s[12:13], v[2:3], -v[0:1]
	v_fma_f64 v[2:3], s[14:15], v[2:3], v[4:5]
.LBB3_41:
	s_mov_b32 s3, exec_lo
.LBB3_42:
	s_or_b32 exec_lo, exec_lo, s0
	s_and_b32 vcc_lo, exec_lo, s4
	s_cbranch_vccnz .LBB3_44
	s_branch .LBB3_49
.LBB3_43:
	s_mov_b32 s3, 0
                                        ; implicit-def: $vgpr2_vgpr3
                                        ; implicit-def: $vgpr8_vgpr9
	s_cbranch_execz .LBB3_49
.LBB3_44:
	v_lshlrev_b32_e32 v13, 4, v18
	s_mov_b32 s0, exec_lo
	ds_read_b128 v[0:3], v13
	ds_read_b128 v[4:7], v13 offset:1024
	s_waitcnt lgkmcnt(0)
	v_add_f64 v[8:9], v[0:1], v[4:5]
	v_add_f64 v[11:12], v[2:3], v[6:7]
	ds_read_b128 v[0:3], v13 offset:2048
	ds_read_b128 v[4:7], v13 offset:3072
	s_waitcnt lgkmcnt(1)
	v_add_f64 v[0:1], v[8:9], v[0:1]
	v_add_f64 v[2:3], v[11:12], v[2:3]
	s_waitcnt lgkmcnt(0)
	v_add_f64 v[8:9], v[0:1], v[4:5]
	v_add_f64 v[11:12], v[2:3], v[6:7]
	ds_read_b128 v[0:3], v13 offset:4096
	ds_read_b128 v[4:7], v13 offset:5120
	s_waitcnt lgkmcnt(1)
	v_add_f64 v[0:1], v[8:9], v[0:1]
	v_add_f64 v[2:3], v[11:12], v[2:3]
	;; [unrolled: 8-line block ×7, first 2 shown]
                                        ; implicit-def: $vgpr8_vgpr9
	s_waitcnt lgkmcnt(0)
	v_add_f64 v[4:5], v[0:1], v[4:5]
	v_add_f64 v[6:7], v[2:3], v[6:7]
                                        ; implicit-def: $vgpr2_vgpr3
	ds_write_b128 v13, v[4:7]
	v_cmpx_gt_i32_e64 s25, v10
	s_cbranch_execz .LBB3_48
; %bb.45:
	v_mul_f64 v[0:1], s[38:39], v[6:7]
	v_mul_f64 v[2:3], s[36:37], v[6:7]
	v_cmp_neq_f64_e64 s4, s[12:13], 0
	v_cmp_neq_f64_e64 s5, s[14:15], 0
	v_mad_u64_u32 v[8:9], null, s20, v10, 0
	v_fma_f64 v[0:1], s[36:37], v[4:5], -v[0:1]
	v_fma_f64 v[2:3], s[38:39], v[4:5], v[2:3]
	v_ashrrev_i32_e32 v4, 31, v10
	v_mul_lo_u32 v5, s21, v10
	s_or_b32 s4, s4, s5
	s_andn2_b32 vcc_lo, exec_lo, s4
	v_mul_lo_u32 v4, s20, v4
	v_add3_u32 v9, v9, v4, v5
	s_cbranch_vccnz .LBB3_47
; %bb.46:
	v_lshlrev_b64 v[4:5], 4, v[8:9]
	v_add_co_u32 v4, vcc_lo, s1, v4
	v_add_co_ci_u32_e64 v5, null, s2, v5, vcc_lo
	global_load_dwordx4 v[4:7], v[4:5], off
	s_waitcnt vmcnt(0)
	v_mul_f64 v[10:11], s[14:15], v[6:7]
	v_mul_f64 v[6:7], s[12:13], v[6:7]
	v_fma_f64 v[10:11], s[12:13], v[4:5], -v[10:11]
	v_fma_f64 v[4:5], s[14:15], v[4:5], v[6:7]
	v_add_f64 v[0:1], v[0:1], v[10:11]
	v_add_f64 v[2:3], v[2:3], v[4:5]
.LBB3_47:
	s_or_b32 s3, s3, exec_lo
.LBB3_48:
	s_or_b32 exec_lo, exec_lo, s0
.LBB3_49:
	s_and_b32 exec_lo, exec_lo, s3
	s_cbranch_execz .LBB3_51
; %bb.50:
	v_lshlrev_b64 v[4:5], 4, v[8:9]
	v_add_co_u32 v4, vcc_lo, s1, v4
	v_add_co_ci_u32_e64 v5, null, s2, v5, vcc_lo
	global_store_dwordx4 v[4:5], v[0:3], off
.LBB3_51:
	s_endpgm
	.section	.rodata,"a",@progbits
	.p2align	6, 0x0
	.amdhsa_kernel _ZL20rocblas_hbmvn_kernelILi64ELi16E19rocblas_complex_numIdEPKS1_PS1_EvbiiT1_T2_lllS6_lllS5_T3_llli
		.amdhsa_group_segment_fixed_size 16384
		.amdhsa_private_segment_fixed_size 0
		.amdhsa_kernarg_size 408
		.amdhsa_user_sgpr_count 6
		.amdhsa_user_sgpr_private_segment_buffer 1
		.amdhsa_user_sgpr_dispatch_ptr 0
		.amdhsa_user_sgpr_queue_ptr 0
		.amdhsa_user_sgpr_kernarg_segment_ptr 1
		.amdhsa_user_sgpr_dispatch_id 0
		.amdhsa_user_sgpr_flat_scratch_init 0
		.amdhsa_user_sgpr_private_segment_size 0
		.amdhsa_wavefront_size32 1
		.amdhsa_uses_dynamic_stack 0
		.amdhsa_system_sgpr_private_segment_wavefront_offset 0
		.amdhsa_system_sgpr_workgroup_id_x 1
		.amdhsa_system_sgpr_workgroup_id_y 0
		.amdhsa_system_sgpr_workgroup_id_z 1
		.amdhsa_system_sgpr_workgroup_info 0
		.amdhsa_system_vgpr_workitem_id 1
		.amdhsa_next_free_vgpr 33
		.amdhsa_next_free_sgpr 52
		.amdhsa_reserve_vcc 1
		.amdhsa_reserve_flat_scratch 0
		.amdhsa_float_round_mode_32 0
		.amdhsa_float_round_mode_16_64 0
		.amdhsa_float_denorm_mode_32 3
		.amdhsa_float_denorm_mode_16_64 3
		.amdhsa_dx10_clamp 1
		.amdhsa_ieee_mode 1
		.amdhsa_fp16_overflow 0
		.amdhsa_workgroup_processor_mode 1
		.amdhsa_memory_ordered 1
		.amdhsa_forward_progress 1
		.amdhsa_shared_vgpr_count 0
		.amdhsa_exception_fp_ieee_invalid_op 0
		.amdhsa_exception_fp_denorm_src 0
		.amdhsa_exception_fp_ieee_div_zero 0
		.amdhsa_exception_fp_ieee_overflow 0
		.amdhsa_exception_fp_ieee_underflow 0
		.amdhsa_exception_fp_ieee_inexact 0
		.amdhsa_exception_int_div_zero 0
	.end_amdhsa_kernel
	.section	.text._ZL20rocblas_hbmvn_kernelILi64ELi16E19rocblas_complex_numIdEPKS1_PS1_EvbiiT1_T2_lllS6_lllS5_T3_llli,"axG",@progbits,_ZL20rocblas_hbmvn_kernelILi64ELi16E19rocblas_complex_numIdEPKS1_PS1_EvbiiT1_T2_lllS6_lllS5_T3_llli,comdat
.Lfunc_end3:
	.size	_ZL20rocblas_hbmvn_kernelILi64ELi16E19rocblas_complex_numIdEPKS1_PS1_EvbiiT1_T2_lllS6_lllS5_T3_llli, .Lfunc_end3-_ZL20rocblas_hbmvn_kernelILi64ELi16E19rocblas_complex_numIdEPKS1_PS1_EvbiiT1_T2_lllS6_lllS5_T3_llli
                                        ; -- End function
	.set _ZL20rocblas_hbmvn_kernelILi64ELi16E19rocblas_complex_numIdEPKS1_PS1_EvbiiT1_T2_lllS6_lllS5_T3_llli.num_vgpr, 33
	.set _ZL20rocblas_hbmvn_kernelILi64ELi16E19rocblas_complex_numIdEPKS1_PS1_EvbiiT1_T2_lllS6_lllS5_T3_llli.num_agpr, 0
	.set _ZL20rocblas_hbmvn_kernelILi64ELi16E19rocblas_complex_numIdEPKS1_PS1_EvbiiT1_T2_lllS6_lllS5_T3_llli.numbered_sgpr, 52
	.set _ZL20rocblas_hbmvn_kernelILi64ELi16E19rocblas_complex_numIdEPKS1_PS1_EvbiiT1_T2_lllS6_lllS5_T3_llli.num_named_barrier, 0
	.set _ZL20rocblas_hbmvn_kernelILi64ELi16E19rocblas_complex_numIdEPKS1_PS1_EvbiiT1_T2_lllS6_lllS5_T3_llli.private_seg_size, 0
	.set _ZL20rocblas_hbmvn_kernelILi64ELi16E19rocblas_complex_numIdEPKS1_PS1_EvbiiT1_T2_lllS6_lllS5_T3_llli.uses_vcc, 1
	.set _ZL20rocblas_hbmvn_kernelILi64ELi16E19rocblas_complex_numIdEPKS1_PS1_EvbiiT1_T2_lllS6_lllS5_T3_llli.uses_flat_scratch, 0
	.set _ZL20rocblas_hbmvn_kernelILi64ELi16E19rocblas_complex_numIdEPKS1_PS1_EvbiiT1_T2_lllS6_lllS5_T3_llli.has_dyn_sized_stack, 0
	.set _ZL20rocblas_hbmvn_kernelILi64ELi16E19rocblas_complex_numIdEPKS1_PS1_EvbiiT1_T2_lllS6_lllS5_T3_llli.has_recursion, 0
	.set _ZL20rocblas_hbmvn_kernelILi64ELi16E19rocblas_complex_numIdEPKS1_PS1_EvbiiT1_T2_lllS6_lllS5_T3_llli.has_indirect_call, 0
	.section	.AMDGPU.csdata,"",@progbits
; Kernel info:
; codeLenInByte = 2556
; TotalNumSgprs: 54
; NumVgprs: 33
; ScratchSize: 0
; MemoryBound: 1
; FloatMode: 240
; IeeeMode: 1
; LDSByteSize: 16384 bytes/workgroup (compile time only)
; SGPRBlocks: 0
; VGPRBlocks: 4
; NumSGPRsForWavesPerEU: 54
; NumVGPRsForWavesPerEU: 33
; Occupancy: 16
; WaveLimiterHint : 0
; COMPUTE_PGM_RSRC2:SCRATCH_EN: 0
; COMPUTE_PGM_RSRC2:USER_SGPR: 6
; COMPUTE_PGM_RSRC2:TRAP_HANDLER: 0
; COMPUTE_PGM_RSRC2:TGID_X_EN: 1
; COMPUTE_PGM_RSRC2:TGID_Y_EN: 0
; COMPUTE_PGM_RSRC2:TGID_Z_EN: 1
; COMPUTE_PGM_RSRC2:TIDIG_COMP_CNT: 1
	.section	.text._ZL20rocblas_hbmvn_kernelILi64ELi16EPK19rocblas_complex_numIfEPKS3_PKPS1_EvbiiT1_T2_lllSA_lllS9_T3_llli,"axG",@progbits,_ZL20rocblas_hbmvn_kernelILi64ELi16EPK19rocblas_complex_numIfEPKS3_PKPS1_EvbiiT1_T2_lllSA_lllS9_T3_llli,comdat
	.globl	_ZL20rocblas_hbmvn_kernelILi64ELi16EPK19rocblas_complex_numIfEPKS3_PKPS1_EvbiiT1_T2_lllSA_lllS9_T3_llli ; -- Begin function _ZL20rocblas_hbmvn_kernelILi64ELi16EPK19rocblas_complex_numIfEPKS3_PKPS1_EvbiiT1_T2_lllSA_lllS9_T3_llli
	.p2align	8
	.type	_ZL20rocblas_hbmvn_kernelILi64ELi16EPK19rocblas_complex_numIfEPKS3_PKPS1_EvbiiT1_T2_lllSA_lllS9_T3_llli,@function
_ZL20rocblas_hbmvn_kernelILi64ELi16EPK19rocblas_complex_numIfEPKS3_PKPS1_EvbiiT1_T2_lllSA_lllS9_T3_llli: ; @_ZL20rocblas_hbmvn_kernelILi64ELi16EPK19rocblas_complex_numIfEPKS3_PKPS1_EvbiiT1_T2_lllSA_lllS9_T3_llli
; %bb.0:
	s_load_dwordx2 s[0:1], s[4:5], 0x94
	s_waitcnt lgkmcnt(0)
	s_lshr_b32 s2, s0, 16
	s_and_b32 s33, s0, 0xffff
	s_and_b32 s0, s1, 0xffff
	s_mul_i32 s1, s2, s33
	s_mul_i32 s1, s1, s0
	s_cmpk_lg_i32 s1, 0x400
	s_cbranch_scc1 .LBB4_54
; %bb.1:
	s_clause 0x1
	s_load_dwordx8 s[16:23], s[4:5], 0x10
	s_load_dwordx8 s[8:15], s[4:5], 0x58
	s_mov_b32 s30, s7
	s_waitcnt lgkmcnt(0)
	s_load_dwordx2 s[24:25], s[16:17], 0x0
	s_load_dwordx2 s[16:17], s[8:9], 0x0
	s_waitcnt lgkmcnt(0)
	v_cmp_neq_f32_e64 s0, s24, 0
	v_cmp_neq_f32_e64 s1, s25, 0
	s_or_b32 s0, s0, s1
	s_and_b32 vcc_lo, exec_lo, s0
	s_mov_b32 s0, -1
	s_cbranch_vccnz .LBB4_3
; %bb.2:
	v_cmp_neq_f32_e64 s0, s16, 1.0
	v_cmp_neq_f32_e64 s1, s17, 0
	s_or_b32 s0, s0, s1
.LBB4_3:
	s_andn2_b32 vcc_lo, exec_lo, s0
	s_cbranch_vccnz .LBB4_54
; %bb.4:
	s_or_b32 s0, s24, s25
	s_mov_b32 s31, 0
	s_bitset0_b32 s0, 31
	s_cmp_lg_u32 s0, 0
	s_cselect_b32 s8, -1, 0
	s_cmp_eq_u32 s0, 0
	s_cselect_b32 s7, -1, 0
	s_and_b32 vcc_lo, exec_lo, s8
	s_cbranch_vccnz .LBB4_6
; %bb.5:
	s_mov_b32 s0, s31
	s_mov_b64 s[28:29], 0
	s_andn2_b32 vcc_lo, exec_lo, s0
	s_mov_b64 s[26:27], 0
	s_cbranch_vccz .LBB4_7
	s_branch .LBB4_8
.LBB4_6:
	s_mov_b64 s[28:29], 0
	s_mov_b64 s[26:27], 0
.LBB4_7:
	s_lshl_b64 s[0:1], s[30:31], 3
	s_add_u32 s0, s18, s0
	s_addc_u32 s1, s19, s1
	s_lshl_b64 s[2:3], s[20:21], 3
	s_load_dwordx2 s[0:1], s[0:1], 0x0
	s_waitcnt lgkmcnt(0)
	s_add_u32 s26, s0, s2
	s_addc_u32 s27, s1, s3
.LBB4_8:
	s_clause 0x1
	s_load_dwordx4 s[0:3], s[4:5], 0x38
	s_load_dwordx2 s[18:19], s[4:5], 0x48
	v_cndmask_b32_e64 v2, 0, 1, s8
	s_andn2_b32 vcc_lo, exec_lo, s8
	s_cbranch_vccnz .LBB4_10
; %bb.9:
	s_lshl_b64 s[8:9], s[30:31], 3
	s_waitcnt lgkmcnt(0)
	s_add_u32 s0, s0, s8
	s_addc_u32 s1, s1, s9
	s_lshl_b64 s[2:3], s[2:3], 3
	s_load_dwordx2 s[0:1], s[0:1], 0x0
	s_waitcnt lgkmcnt(0)
	s_add_u32 s28, s0, s2
	s_addc_u32 s29, s1, s3
.LBB4_10:
	s_waitcnt lgkmcnt(0)
	s_lshl_b64 s[0:1], s[30:31], 3
	v_cmp_ne_u32_e32 vcc_lo, 1, v2
	s_add_u32 s0, s10, s0
	s_addc_u32 s1, s11, s1
	s_load_dwordx4 s[8:11], s[4:5], 0x0
	s_load_dwordx2 s[4:5], s[0:1], 0x0
	v_mad_u32_u24 v15, v1, s33, v0
	s_cbranch_vccnz .LBB4_42
; %bb.11:
	v_lshrrev_b32_e32 v16, 6, v15
	v_mov_b32_e32 v8, 0
	v_mov_b32_e32 v7, 0
	s_mov_b32 s3, exec_lo
	s_waitcnt lgkmcnt(0)
	v_cmpx_gt_i32_e64 s9, v16
	s_cbranch_execz .LBB4_41
; %bb.12:
	v_and_b32_e32 v14, 63, v15
	s_lshl_b32 s2, s6, 6
	v_mad_u64_u32 v[6:7], null, s18, v16, 0
	s_bitcmp1_b32 s8, 0
	v_or_b32_e32 v0, s2, v14
	v_add3_u32 v2, s10, s2, v14
	s_cselect_b32 s0, -1, 0
	v_mad_u64_u32 v[8:9], null, s22, v16, 0
	v_ashrrev_i32_e32 v1, 31, v0
	v_mul_lo_u32 v5, s23, v0
	v_mad_u64_u32 v[3:4], null, s22, v0, 0
	v_sub_nc_u32_e32 v2, v2, v16
	v_mul_lo_u32 v11, s22, v1
	v_sub_nc_u32_e32 v10, v0, v16
	s_and_b32 s1, s0, exec_lo
	s_cselect_b32 s31, s10, 0
	s_xor_b32 s8, s0, -1
	s_cmp_eq_u32 s10, 0
	v_cndmask_b32_e64 v17, v10, v2, s0
	s_cselect_b32 s20, -1, 0
	v_add3_u32 v4, v4, v11, v5
	v_mov_b32_e32 v5, v7
	s_lshl_b64 s[34:35], s[22:23], 3
	s_or_b32 s30, s8, s20
	s_lshl_b64 s[20:21], s[22:23], 7
	v_lshlrev_b64 v[10:11], 3, v[3:4]
	v_mad_u64_u32 v[3:4], null, s19, v16, v[5:6]
	v_lshlrev_b64 v[4:5], 3, v[0:1]
	s_lshl_b64 s[18:19], s[18:19], 7
	s_add_u32 s22, s34, -8
	v_mov_b32_e32 v1, v9
	v_cmp_gt_i32_e64 s1, s9, v0
	s_mov_b32 s11, 0
	v_mad_u64_u32 v[4:5], null, v16, s22, v[4:5]
	v_mad_u64_u32 v[12:13], null, s23, v16, v[1:2]
	v_mov_b32_e32 v7, v3
	s_addc_u32 s22, s35, -1
	v_add_co_u32 v1, vcc_lo, s26, v10
	v_mov_b32_e32 v3, v5
	v_lshlrev_b64 v[5:6], 3, v[6:7]
	v_sub_nc_u32_e32 v7, s31, v14
	v_mov_b32_e32 v9, v12
	v_add_co_ci_u32_e64 v18, null, s27, v11, vcc_lo
	v_mad_u64_u32 v[13:14], null, v16, s22, v[3:4]
	v_add_co_u32 v5, vcc_lo, s28, v5
	v_lshlrev_b64 v[9:10], 3, v[8:9]
	v_add_co_ci_u32_e64 v6, null, s29, v6, vcc_lo
	v_subrev_nc_u32_e32 v19, s2, v7
	v_mov_b32_e32 v20, v13
	v_mov_b32_e32 v12, 0
	;; [unrolled: 1-line block ×4, first 2 shown]
	s_add_u32 s28, s20, 0xffffff80
	s_addc_u32 s29, s21, -1
	s_mov_b64 s[22:23], 0
	s_branch .LBB4_16
.LBB4_13:                               ;   in Loop: Header=BB4_16 Depth=1
	s_or_b32 exec_lo, exec_lo, s2
.LBB4_14:                               ;   in Loop: Header=BB4_16 Depth=1
	s_or_b32 exec_lo, exec_lo, s33
.LBB4_15:                               ;   in Loop: Header=BB4_16 Depth=1
	s_or_b32 exec_lo, exec_lo, s31
	v_add_nc_u32_e32 v16, 16, v16
	v_add_co_u32 v5, vcc_lo, v5, s18
	v_add_co_ci_u32_e64 v6, null, s19, v6, vcc_lo
	v_add_co_u32 v9, vcc_lo, v9, s20
	v_add_co_ci_u32_e64 v10, null, s21, v10, vcc_lo
	v_cmp_le_i32_e32 vcc_lo, s9, v16
	v_add_co_u32 v4, s2, v4, s28
	v_add_nc_u32_e32 v2, -16, v2
	v_add_co_ci_u32_e64 v20, null, s29, v20, s2
	s_add_u32 s22, s22, -16
	s_addc_u32 s23, s23, -1
	s_or_b32 s11, vcc_lo, s11
	s_andn2_b32 exec_lo, exec_lo, s11
	s_cbranch_execz .LBB4_40
.LBB4_16:                               ; =>This Inner Loop Header: Depth=1
	s_and_saveexec_b32 s31, s1
	s_cbranch_execz .LBB4_15
; %bb.17:                               ;   in Loop: Header=BB4_16 Depth=1
	v_cmp_gt_i32_e32 vcc_lo, v0, v16
	v_cndmask_b32_e64 v3, 0, 1, vcc_lo
	v_cmp_lt_i32_e32 vcc_lo, v0, v16
	v_cndmask_b32_e64 v11, 0, 1, vcc_lo
	v_cndmask_b32_e64 v3, v11, v3, s0
	v_and_b32_e32 v3, 1, v3
	v_cmp_eq_u32_e32 vcc_lo, 1, v3
	s_xor_b32 s2, vcc_lo, -1
	s_and_saveexec_b32 s33, s2
	s_xor_b32 s33, exec_lo, s33
	s_cbranch_execz .LBB4_37
; %bb.18:                               ;   in Loop: Header=BB4_16 Depth=1
	v_add_nc_u32_e32 v11, s22, v17
	v_cmp_le_i32_e32 vcc_lo, s10, v11
	v_cmp_gt_i32_e64 s2, 1, v11
	s_or_b32 s2, vcc_lo, s2
	s_and_saveexec_b32 s34, s2
	s_xor_b32 s2, exec_lo, s34
	s_cbranch_execz .LBB4_34
; %bb.19:                               ;   in Loop: Header=BB4_16 Depth=1
	s_mov_b32 s34, exec_lo
	v_cmpx_ne_u32_e32 0, v11
	s_xor_b32 s34, exec_lo, s34
	s_cbranch_execz .LBB4_27
; %bb.20:                               ;   in Loop: Header=BB4_16 Depth=1
	s_mov_b32 s35, exec_lo
	v_cmpx_eq_u32_e64 s10, v11
	s_cbranch_execz .LBB4_26
; %bb.21:                               ;   in Loop: Header=BB4_16 Depth=1
	s_and_b32 vcc_lo, exec_lo, s8
	s_mov_b32 s36, -1
                                        ; implicit-def: $vgpr3
                                        ; implicit-def: $vgpr11
	s_cbranch_vccz .LBB4_23
; %bb.22:                               ;   in Loop: Header=BB4_16 Depth=1
	v_add_co_u32 v13, vcc_lo, s26, v4
	v_add_co_ci_u32_e64 v14, null, s27, v20, vcc_lo
	s_mov_b32 s36, 0
	flat_load_dwordx2 v[21:22], v[5:6]
	flat_load_dwordx2 v[13:14], v[13:14]
	s_waitcnt vmcnt(0) lgkmcnt(0)
	v_mul_f32_e32 v3, v22, v14
	v_mul_f32_e32 v14, v21, v14
	v_fma_f32 v3, v21, v13, -v3
	v_fmac_f32_e32 v14, v22, v13
	v_add_f32_e32 v11, v7, v3
	v_add_f32_e32 v3, v8, v14
.LBB4_23:                               ;   in Loop: Header=BB4_16 Depth=1
	s_andn2_b32 vcc_lo, exec_lo, s36
	s_cbranch_vccnz .LBB4_25
; %bb.24:                               ;   in Loop: Header=BB4_16 Depth=1
	v_ashrrev_i32_e32 v3, 31, v2
	v_lshlrev_b64 v[13:14], 3, v[2:3]
	v_add_co_u32 v3, vcc_lo, v9, v13
	v_add_co_ci_u32_e64 v11, null, v10, v14, vcc_lo
	v_add_co_u32 v13, vcc_lo, s26, v3
	v_add_co_ci_u32_e64 v14, null, s27, v11, vcc_lo
	flat_load_dwordx2 v[21:22], v[5:6]
	flat_load_dword v3, v[13:14]
	s_waitcnt vmcnt(0) lgkmcnt(0)
	v_fmac_f32_e32 v8, v3, v22
	v_fmac_f32_e32 v7, v3, v21
	v_mov_b32_e32 v3, v8
	v_mov_b32_e32 v11, v7
.LBB4_25:                               ;   in Loop: Header=BB4_16 Depth=1
	v_mov_b32_e32 v8, v3
	v_mov_b32_e32 v7, v11
.LBB4_26:                               ;   in Loop: Header=BB4_16 Depth=1
	s_or_b32 exec_lo, exec_lo, s35
.LBB4_27:                               ;   in Loop: Header=BB4_16 Depth=1
	s_andn2_saveexec_b32 s34, s34
	s_cbranch_execz .LBB4_33
; %bb.28:                               ;   in Loop: Header=BB4_16 Depth=1
	v_add_co_u32 v13, vcc_lo, s26, v9
	v_add_co_ci_u32_e64 v14, null, s27, v10, vcc_lo
	s_andn2_b32 vcc_lo, exec_lo, s30
	s_mov_b32 s35, -1
                                        ; implicit-def: $vgpr11
                                        ; implicit-def: $vgpr3
	s_cbranch_vccnz .LBB4_30
; %bb.29:                               ;   in Loop: Header=BB4_16 Depth=1
	flat_load_dword v11, v[13:14]
	flat_load_dwordx2 v[21:22], v[5:6]
	s_mov_b32 s35, 0
	s_waitcnt vmcnt(0) lgkmcnt(0)
	v_fma_f32 v3, v11, v21, v7
	v_fma_f32 v11, v11, v22, v8
.LBB4_30:                               ;   in Loop: Header=BB4_16 Depth=1
	s_andn2_b32 vcc_lo, exec_lo, s35
	s_cbranch_vccnz .LBB4_32
; %bb.31:                               ;   in Loop: Header=BB4_16 Depth=1
	flat_load_dwordx2 v[13:14], v[13:14]
	flat_load_dwordx2 v[21:22], v[5:6]
	s_waitcnt vmcnt(0) lgkmcnt(0)
	v_mul_f32_e32 v3, v22, v14
	v_mul_f32_e32 v11, v21, v14
	v_fma_f32 v3, v21, v13, -v3
	v_fmac_f32_e32 v11, v22, v13
	v_add_f32_e32 v3, v7, v3
	v_add_f32_e32 v11, v8, v11
.LBB4_32:                               ;   in Loop: Header=BB4_16 Depth=1
	v_mov_b32_e32 v8, v11
	v_mov_b32_e32 v7, v3
.LBB4_33:                               ;   in Loop: Header=BB4_16 Depth=1
	s_or_b32 exec_lo, exec_lo, s34
.LBB4_34:                               ;   in Loop: Header=BB4_16 Depth=1
	s_andn2_saveexec_b32 s2, s2
	s_cbranch_execz .LBB4_36
; %bb.35:                               ;   in Loop: Header=BB4_16 Depth=1
	v_lshlrev_b64 v[13:14], 3, v[11:12]
	v_add_co_u32 v3, vcc_lo, v9, v13
	v_add_co_ci_u32_e64 v11, null, v10, v14, vcc_lo
	v_add_co_u32 v13, vcc_lo, s26, v3
	v_add_co_ci_u32_e64 v14, null, s27, v11, vcc_lo
	flat_load_dwordx2 v[21:22], v[5:6]
	flat_load_dwordx2 v[13:14], v[13:14]
	s_waitcnt vmcnt(0) lgkmcnt(0)
	v_mul_f32_e32 v3, v22, v14
	v_mul_f32_e32 v11, v21, v14
	v_fma_f32 v3, v21, v13, -v3
	v_fmac_f32_e32 v11, v22, v13
	v_add_f32_e32 v7, v7, v3
	v_add_f32_e32 v8, v8, v11
.LBB4_36:                               ;   in Loop: Header=BB4_16 Depth=1
	s_or_b32 exec_lo, exec_lo, s2
.LBB4_37:                               ;   in Loop: Header=BB4_16 Depth=1
	s_andn2_saveexec_b32 s33, s33
	s_cbranch_execz .LBB4_14
; %bb.38:                               ;   in Loop: Header=BB4_16 Depth=1
	v_add_nc_u32_e32 v11, v19, v16
	v_cmp_ge_i32_e32 vcc_lo, s10, v11
	v_cmp_lt_i32_e64 s2, -1, v11
	s_and_b32 s34, vcc_lo, s2
	s_and_saveexec_b32 s2, s34
	s_cbranch_execz .LBB4_13
; %bb.39:                               ;   in Loop: Header=BB4_16 Depth=1
	v_lshlrev_b64 v[13:14], 3, v[11:12]
	v_add_co_u32 v13, vcc_lo, v1, v13
	v_add_co_ci_u32_e64 v14, null, v18, v14, vcc_lo
	flat_load_dwordx2 v[21:22], v[5:6]
	flat_load_dwordx2 v[13:14], v[13:14]
	s_waitcnt vmcnt(0) lgkmcnt(0)
	v_mul_f32_e32 v3, v14, v22
	v_mul_f32_e32 v11, v14, v21
	v_fmac_f32_e32 v3, v13, v21
	v_fma_f32 v11, v13, v22, -v11
	v_add_f32_e32 v7, v7, v3
	v_add_f32_e32 v8, v8, v11
	s_branch .LBB4_13
.LBB4_40:
	s_or_b32 exec_lo, exec_lo, s11
.LBB4_41:
	s_or_b32 exec_lo, exec_lo, s3
	v_lshlrev_b32_e32 v0, 3, v15
	ds_write_b64 v0, v[7:8]
	s_waitcnt lgkmcnt(0)
	s_barrier
	buffer_gl0_inv
.LBB4_42:
	s_mov_b32 s0, exec_lo
	v_cmpx_gt_u32_e32 64, v15
	s_cbranch_execz .LBB4_54
; %bb.43:
	v_lshl_or_b32 v4, s6, 6, v15
	s_lshl_b64 s[2:3], s[12:13], 3
	s_waitcnt lgkmcnt(0)
	s_add_u32 s1, s4, s2
	s_addc_u32 s2, s5, s3
	v_cmp_gt_i32_e64 s0, s9, v4
	s_and_b32 vcc_lo, exec_lo, s7
	s_mov_b32 s3, -1
	s_cbranch_vccz .LBB4_49
; %bb.44:
	s_and_saveexec_b32 s3, s0
	s_cbranch_execz .LBB4_48
; %bb.45:
	v_ashrrev_i32_e32 v0, 31, v4
	v_mul_lo_u32 v2, s15, v4
	v_cmp_neq_f32_e64 s0, s16, 0
	v_cmp_neq_f32_e64 s4, s17, 0
	v_mul_lo_u32 v3, s14, v0
	v_mad_u64_u32 v[0:1], null, s14, v4, 0
	s_or_b32 s0, s0, s4
	s_andn2_b32 vcc_lo, exec_lo, s0
	v_add3_u32 v1, v1, v3, v2
	v_mov_b32_e32 v3, 0
	v_mov_b32_e32 v2, 0
	v_lshlrev_b64 v[0:1], 3, v[0:1]
	s_cbranch_vccnz .LBB4_47
; %bb.46:
	v_add_co_u32 v2, vcc_lo, s1, v0
	v_add_co_ci_u32_e64 v3, null, s2, v1, vcc_lo
	flat_load_dwordx2 v[5:6], v[2:3]
	s_waitcnt vmcnt(0) lgkmcnt(0)
	v_mul_f32_e32 v2, s17, v6
	v_mul_f32_e32 v3, s16, v6
	v_fma_f32 v2, s16, v5, -v2
	v_fmac_f32_e32 v3, s17, v5
.LBB4_47:
	v_add_co_u32 v0, vcc_lo, s1, v0
	v_add_co_ci_u32_e64 v1, null, s2, v1, vcc_lo
	flat_store_dwordx2 v[0:1], v[2:3]
.LBB4_48:
	s_or_b32 exec_lo, exec_lo, s3
	s_mov_b32 s3, 0
.LBB4_49:
	s_andn2_b32 vcc_lo, exec_lo, s3
	s_cbranch_vccnz .LBB4_54
; %bb.50:
	v_lshlrev_b32_e32 v13, 3, v15
	v_cmp_gt_i32_e32 vcc_lo, s9, v4
	ds_read2st64_b64 v[0:3], v13 offset1:1
	ds_read2st64_b64 v[5:8], v13 offset0:2 offset1:3
	ds_read2st64_b64 v[9:12], v13 offset0:4 offset1:5
	s_waitcnt lgkmcnt(2)
	v_add_f32_e32 v14, v0, v2
	v_add_f32_e32 v15, v1, v3
	ds_read2st64_b64 v[0:3], v13 offset0:6 offset1:7
	s_waitcnt lgkmcnt(2)
	v_add_f32_e32 v5, v14, v5
	v_add_f32_e32 v6, v15, v6
	v_add_f32_e32 v14, v5, v7
	v_add_f32_e32 v15, v6, v8
	ds_read2st64_b64 v[5:8], v13 offset0:8 offset1:9
	s_waitcnt lgkmcnt(2)
	v_add_f32_e32 v9, v14, v9
	v_add_f32_e32 v10, v15, v10
	v_add_f32_e32 v14, v9, v11
	v_add_f32_e32 v15, v10, v12
	ds_read2st64_b64 v[9:12], v13 offset0:10 offset1:11
	s_waitcnt lgkmcnt(2)
	v_add_f32_e32 v0, v14, v0
	v_add_f32_e32 v1, v15, v1
	v_add_f32_e32 v14, v0, v2
	v_add_f32_e32 v15, v1, v3
	ds_read2st64_b64 v[0:3], v13 offset0:12 offset1:13
	s_waitcnt lgkmcnt(2)
	v_add_f32_e32 v5, v14, v5
	v_add_f32_e32 v6, v15, v6
	v_add_f32_e32 v14, v5, v7
	v_add_f32_e32 v15, v6, v8
	ds_read2st64_b64 v[5:8], v13 offset0:14 offset1:15
	s_waitcnt lgkmcnt(2)
	v_add_f32_e32 v9, v14, v9
	v_add_f32_e32 v10, v15, v10
	v_add_f32_e32 v9, v9, v11
	v_add_f32_e32 v10, v10, v12
	s_waitcnt lgkmcnt(1)
	v_add_f32_e32 v0, v9, v0
	v_add_f32_e32 v1, v10, v1
	v_add_f32_e32 v0, v0, v2
	v_add_f32_e32 v1, v1, v3
	s_waitcnt lgkmcnt(0)
	v_add_f32_e32 v0, v0, v5
	v_add_f32_e32 v1, v1, v6
	;; [unrolled: 1-line block ×4, first 2 shown]
	ds_write_b64 v13, v[0:1]
	s_and_b32 exec_lo, exec_lo, vcc_lo
	s_cbranch_execz .LBB4_54
; %bb.51:
	v_ashrrev_i32_e32 v2, 31, v4
	v_mul_lo_u32 v5, s15, v4
	v_mad_u64_u32 v[3:4], null, s14, v4, 0
	v_mul_f32_e32 v6, s25, v1
	v_mul_lo_u32 v2, s14, v2
	v_cmp_neq_f32_e64 s0, s16, 0
	v_cmp_neq_f32_e64 s3, s17, 0
	s_or_b32 s0, s0, s3
	v_add3_u32 v4, v4, v2, v5
	v_mul_f32_e32 v2, s24, v1
	v_fma_f32 v1, v0, s24, -v6
	s_andn2_b32 vcc_lo, exec_lo, s0
	v_lshlrev_b64 v[3:4], 3, v[3:4]
	v_fmac_f32_e32 v2, s25, v0
	s_cbranch_vccnz .LBB4_53
; %bb.52:
	v_add_co_u32 v5, vcc_lo, s1, v3
	v_add_co_ci_u32_e64 v6, null, s2, v4, vcc_lo
	flat_load_dwordx2 v[5:6], v[5:6]
	s_waitcnt vmcnt(0) lgkmcnt(0)
	v_mul_f32_e32 v0, s17, v6
	v_mul_f32_e32 v6, s16, v6
	v_fma_f32 v0, s16, v5, -v0
	v_fmac_f32_e32 v6, s17, v5
	v_add_f32_e32 v1, v1, v0
	v_add_f32_e32 v2, v2, v6
.LBB4_53:
	v_add_co_u32 v3, vcc_lo, s1, v3
	v_add_co_ci_u32_e64 v4, null, s2, v4, vcc_lo
	flat_store_dwordx2 v[3:4], v[1:2]
.LBB4_54:
	s_endpgm
	.section	.rodata,"a",@progbits
	.p2align	6, 0x0
	.amdhsa_kernel _ZL20rocblas_hbmvn_kernelILi64ELi16EPK19rocblas_complex_numIfEPKS3_PKPS1_EvbiiT1_T2_lllSA_lllS9_T3_llli
		.amdhsa_group_segment_fixed_size 8192
		.amdhsa_private_segment_fixed_size 0
		.amdhsa_kernarg_size 392
		.amdhsa_user_sgpr_count 6
		.amdhsa_user_sgpr_private_segment_buffer 1
		.amdhsa_user_sgpr_dispatch_ptr 0
		.amdhsa_user_sgpr_queue_ptr 0
		.amdhsa_user_sgpr_kernarg_segment_ptr 1
		.amdhsa_user_sgpr_dispatch_id 0
		.amdhsa_user_sgpr_flat_scratch_init 0
		.amdhsa_user_sgpr_private_segment_size 0
		.amdhsa_wavefront_size32 1
		.amdhsa_uses_dynamic_stack 0
		.amdhsa_system_sgpr_private_segment_wavefront_offset 0
		.amdhsa_system_sgpr_workgroup_id_x 1
		.amdhsa_system_sgpr_workgroup_id_y 0
		.amdhsa_system_sgpr_workgroup_id_z 1
		.amdhsa_system_sgpr_workgroup_info 0
		.amdhsa_system_vgpr_workitem_id 1
		.amdhsa_next_free_vgpr 23
		.amdhsa_next_free_sgpr 37
		.amdhsa_reserve_vcc 1
		.amdhsa_reserve_flat_scratch 0
		.amdhsa_float_round_mode_32 0
		.amdhsa_float_round_mode_16_64 0
		.amdhsa_float_denorm_mode_32 3
		.amdhsa_float_denorm_mode_16_64 3
		.amdhsa_dx10_clamp 1
		.amdhsa_ieee_mode 1
		.amdhsa_fp16_overflow 0
		.amdhsa_workgroup_processor_mode 1
		.amdhsa_memory_ordered 1
		.amdhsa_forward_progress 1
		.amdhsa_shared_vgpr_count 0
		.amdhsa_exception_fp_ieee_invalid_op 0
		.amdhsa_exception_fp_denorm_src 0
		.amdhsa_exception_fp_ieee_div_zero 0
		.amdhsa_exception_fp_ieee_overflow 0
		.amdhsa_exception_fp_ieee_underflow 0
		.amdhsa_exception_fp_ieee_inexact 0
		.amdhsa_exception_int_div_zero 0
	.end_amdhsa_kernel
	.section	.text._ZL20rocblas_hbmvn_kernelILi64ELi16EPK19rocblas_complex_numIfEPKS3_PKPS1_EvbiiT1_T2_lllSA_lllS9_T3_llli,"axG",@progbits,_ZL20rocblas_hbmvn_kernelILi64ELi16EPK19rocblas_complex_numIfEPKS3_PKPS1_EvbiiT1_T2_lllSA_lllS9_T3_llli,comdat
.Lfunc_end4:
	.size	_ZL20rocblas_hbmvn_kernelILi64ELi16EPK19rocblas_complex_numIfEPKS3_PKPS1_EvbiiT1_T2_lllSA_lllS9_T3_llli, .Lfunc_end4-_ZL20rocblas_hbmvn_kernelILi64ELi16EPK19rocblas_complex_numIfEPKS3_PKPS1_EvbiiT1_T2_lllSA_lllS9_T3_llli
                                        ; -- End function
	.set _ZL20rocblas_hbmvn_kernelILi64ELi16EPK19rocblas_complex_numIfEPKS3_PKPS1_EvbiiT1_T2_lllSA_lllS9_T3_llli.num_vgpr, 23
	.set _ZL20rocblas_hbmvn_kernelILi64ELi16EPK19rocblas_complex_numIfEPKS3_PKPS1_EvbiiT1_T2_lllSA_lllS9_T3_llli.num_agpr, 0
	.set _ZL20rocblas_hbmvn_kernelILi64ELi16EPK19rocblas_complex_numIfEPKS3_PKPS1_EvbiiT1_T2_lllSA_lllS9_T3_llli.numbered_sgpr, 37
	.set _ZL20rocblas_hbmvn_kernelILi64ELi16EPK19rocblas_complex_numIfEPKS3_PKPS1_EvbiiT1_T2_lllSA_lllS9_T3_llli.num_named_barrier, 0
	.set _ZL20rocblas_hbmvn_kernelILi64ELi16EPK19rocblas_complex_numIfEPKS3_PKPS1_EvbiiT1_T2_lllSA_lllS9_T3_llli.private_seg_size, 0
	.set _ZL20rocblas_hbmvn_kernelILi64ELi16EPK19rocblas_complex_numIfEPKS3_PKPS1_EvbiiT1_T2_lllSA_lllS9_T3_llli.uses_vcc, 1
	.set _ZL20rocblas_hbmvn_kernelILi64ELi16EPK19rocblas_complex_numIfEPKS3_PKPS1_EvbiiT1_T2_lllSA_lllS9_T3_llli.uses_flat_scratch, 0
	.set _ZL20rocblas_hbmvn_kernelILi64ELi16EPK19rocblas_complex_numIfEPKS3_PKPS1_EvbiiT1_T2_lllSA_lllS9_T3_llli.has_dyn_sized_stack, 0
	.set _ZL20rocblas_hbmvn_kernelILi64ELi16EPK19rocblas_complex_numIfEPKS3_PKPS1_EvbiiT1_T2_lllSA_lllS9_T3_llli.has_recursion, 0
	.set _ZL20rocblas_hbmvn_kernelILi64ELi16EPK19rocblas_complex_numIfEPKS3_PKPS1_EvbiiT1_T2_lllSA_lllS9_T3_llli.has_indirect_call, 0
	.section	.AMDGPU.csdata,"",@progbits
; Kernel info:
; codeLenInByte = 2168
; TotalNumSgprs: 39
; NumVgprs: 23
; ScratchSize: 0
; MemoryBound: 0
; FloatMode: 240
; IeeeMode: 1
; LDSByteSize: 8192 bytes/workgroup (compile time only)
; SGPRBlocks: 0
; VGPRBlocks: 2
; NumSGPRsForWavesPerEU: 39
; NumVGPRsForWavesPerEU: 23
; Occupancy: 16
; WaveLimiterHint : 1
; COMPUTE_PGM_RSRC2:SCRATCH_EN: 0
; COMPUTE_PGM_RSRC2:USER_SGPR: 6
; COMPUTE_PGM_RSRC2:TRAP_HANDLER: 0
; COMPUTE_PGM_RSRC2:TGID_X_EN: 1
; COMPUTE_PGM_RSRC2:TGID_Y_EN: 0
; COMPUTE_PGM_RSRC2:TGID_Z_EN: 1
; COMPUTE_PGM_RSRC2:TIDIG_COMP_CNT: 1
	.section	.text._ZL20rocblas_hbmvn_kernelILi64ELi16E19rocblas_complex_numIfEPKPKS1_PKPS1_EvbiiT1_T2_lllSA_lllS9_T3_llli,"axG",@progbits,_ZL20rocblas_hbmvn_kernelILi64ELi16E19rocblas_complex_numIfEPKPKS1_PKPS1_EvbiiT1_T2_lllSA_lllS9_T3_llli,comdat
	.globl	_ZL20rocblas_hbmvn_kernelILi64ELi16E19rocblas_complex_numIfEPKPKS1_PKPS1_EvbiiT1_T2_lllSA_lllS9_T3_llli ; -- Begin function _ZL20rocblas_hbmvn_kernelILi64ELi16E19rocblas_complex_numIfEPKPKS1_PKPS1_EvbiiT1_T2_lllSA_lllS9_T3_llli
	.p2align	8
	.type	_ZL20rocblas_hbmvn_kernelILi64ELi16E19rocblas_complex_numIfEPKPKS1_PKPS1_EvbiiT1_T2_lllSA_lllS9_T3_llli,@function
_ZL20rocblas_hbmvn_kernelILi64ELi16E19rocblas_complex_numIfEPKPKS1_PKPS1_EvbiiT1_T2_lllSA_lllS9_T3_llli: ; @_ZL20rocblas_hbmvn_kernelILi64ELi16E19rocblas_complex_numIfEPKPKS1_PKPS1_EvbiiT1_T2_lllSA_lllS9_T3_llli
; %bb.0:
	s_load_dwordx2 s[0:1], s[4:5], 0x94
	s_waitcnt lgkmcnt(0)
	s_lshr_b32 s2, s0, 16
	s_and_b32 s29, s0, 0xffff
	s_and_b32 s0, s1, 0xffff
	s_mul_i32 s1, s2, s29
	s_mul_i32 s1, s1, s0
	s_cmpk_lg_i32 s1, 0x400
	s_cbranch_scc1 .LBB5_54
; %bb.1:
	s_mov_b32 s22, s7
	s_clause 0x2
	s_load_dwordx4 s[8:11], s[4:5], 0x0
	s_load_dword s7, s[4:5], 0x10
	s_load_dwordx2 s[16:17], s[4:5], 0x58
	s_waitcnt lgkmcnt(0)
	v_cmp_neq_f32_e64 s0, s11, 0
	v_cmp_neq_f32_e64 s1, s7, 0
	s_or_b32 s0, s0, s1
	s_and_b32 vcc_lo, exec_lo, s0
	s_mov_b32 s0, -1
	s_cbranch_vccnz .LBB5_3
; %bb.2:
	v_cmp_neq_f32_e64 s0, s16, 1.0
	v_cmp_neq_f32_e64 s1, s17, 0
	s_or_b32 s0, s0, s1
.LBB5_3:
	s_andn2_b32 vcc_lo, exec_lo, s0
	s_cbranch_vccnz .LBB5_54
; %bb.4:
	s_clause 0x1
	s_load_dwordx4 s[0:3], s[4:5], 0x18
	s_load_dwordx2 s[24:25], s[4:5], 0x28
	s_or_b32 s12, s11, s7
	s_mov_b32 s23, 0
	s_and_b32 s13, s12, 0x7fffffff
	s_cmp_lg_u32 s13, 0
	s_cselect_b32 s12, -1, 0
	s_cmp_eq_u32 s13, 0
	s_cselect_b32 s28, -1, 0
	s_and_b32 vcc_lo, exec_lo, s12
	s_cbranch_vccnz .LBB5_6
; %bb.5:
	s_mov_b32 s13, s23
	s_mov_b64 s[26:27], 0
	s_andn2_b32 vcc_lo, exec_lo, s13
	s_mov_b64 s[18:19], 0
	s_cbranch_vccz .LBB5_7
	s_branch .LBB5_8
.LBB5_6:
	s_mov_b64 s[26:27], 0
	s_mov_b64 s[18:19], 0
.LBB5_7:
	s_lshl_b64 s[14:15], s[22:23], 3
	s_waitcnt lgkmcnt(0)
	s_add_u32 s0, s0, s14
	s_addc_u32 s1, s1, s15
	s_lshl_b64 s[2:3], s[2:3], 3
	s_load_dwordx2 s[0:1], s[0:1], 0x0
	s_waitcnt lgkmcnt(0)
	s_add_u32 s18, s0, s2
	s_addc_u32 s19, s1, s3
.LBB5_8:
	s_waitcnt lgkmcnt(0)
	s_clause 0x1
	s_load_dwordx4 s[0:3], s[4:5], 0x38
	s_load_dwordx2 s[20:21], s[4:5], 0x48
	v_cndmask_b32_e64 v2, 0, 1, s12
	s_andn2_b32 vcc_lo, exec_lo, s12
	s_cbranch_vccnz .LBB5_10
; %bb.9:
	s_lshl_b64 s[12:13], s[22:23], 3
	s_waitcnt lgkmcnt(0)
	s_add_u32 s0, s0, s12
	s_addc_u32 s1, s1, s13
	s_lshl_b64 s[2:3], s[2:3], 3
	s_load_dwordx2 s[0:1], s[0:1], 0x0
	s_waitcnt lgkmcnt(0)
	s_add_u32 s26, s0, s2
	s_addc_u32 s27, s1, s3
.LBB5_10:
	s_load_dwordx4 s[12:15], s[4:5], 0x60
	s_waitcnt lgkmcnt(0)
	s_lshl_b64 s[0:1], s[22:23], 3
	s_load_dwordx2 s[4:5], s[4:5], 0x70
	v_cmp_ne_u32_e32 vcc_lo, 1, v2
	v_mad_u32_u24 v15, v1, s29, v0
	s_add_u32 s0, s12, s0
	s_addc_u32 s1, s13, s1
	s_load_dwordx2 s[12:13], s[0:1], 0x0
	s_cbranch_vccnz .LBB5_42
; %bb.11:
	v_lshrrev_b32_e32 v16, 6, v15
	v_mov_b32_e32 v8, 0
	v_mov_b32_e32 v7, 0
	s_mov_b32 s3, exec_lo
	v_cmpx_gt_i32_e64 s9, v16
	s_cbranch_execz .LBB5_41
; %bb.12:
	v_and_b32_e32 v14, 63, v15
	s_lshl_b32 s2, s6, 6
	v_mad_u64_u32 v[6:7], null, s20, v16, 0
	s_bitcmp1_b32 s8, 0
	v_or_b32_e32 v0, s2, v14
	v_add3_u32 v2, s10, s2, v14
	s_cselect_b32 s0, -1, 0
	v_mad_u64_u32 v[8:9], null, s24, v16, 0
	v_ashrrev_i32_e32 v1, 31, v0
	v_mul_lo_u32 v5, s25, v0
	v_mad_u64_u32 v[3:4], null, s24, v0, 0
	v_sub_nc_u32_e32 v2, v2, v16
	v_mul_lo_u32 v11, s24, v1
	v_sub_nc_u32_e32 v10, v0, v16
	s_and_b32 s1, s0, exec_lo
	s_cselect_b32 s31, s10, 0
	s_xor_b32 s8, s0, -1
	s_cmp_eq_u32 s10, 0
	v_cndmask_b32_e64 v17, v10, v2, s0
	s_cselect_b32 s22, -1, 0
	v_add3_u32 v4, v4, v11, v5
	v_mov_b32_e32 v5, v7
	s_lshl_b64 s[34:35], s[24:25], 3
	s_or_b32 s30, s8, s22
	s_lshl_b64 s[22:23], s[24:25], 7
	v_lshlrev_b64 v[10:11], 3, v[3:4]
	v_mad_u64_u32 v[3:4], null, s21, v16, v[5:6]
	v_lshlrev_b64 v[4:5], 3, v[0:1]
	s_lshl_b64 s[20:21], s[20:21], 7
	s_add_u32 s24, s34, -8
	v_mov_b32_e32 v1, v9
	v_cmp_gt_i32_e64 s1, s9, v0
	s_mov_b32 s29, 0
	v_mad_u64_u32 v[4:5], null, v16, s24, v[4:5]
	v_mad_u64_u32 v[12:13], null, s25, v16, v[1:2]
	v_mov_b32_e32 v7, v3
	s_addc_u32 s24, s35, -1
	v_add_co_u32 v1, vcc_lo, s18, v10
	v_mov_b32_e32 v3, v5
	v_lshlrev_b64 v[5:6], 3, v[6:7]
	v_sub_nc_u32_e32 v7, s31, v14
	v_mov_b32_e32 v9, v12
	v_add_co_ci_u32_e64 v18, null, s19, v11, vcc_lo
	v_mad_u64_u32 v[13:14], null, v16, s24, v[3:4]
	v_add_co_u32 v5, vcc_lo, s26, v5
	v_lshlrev_b64 v[9:10], 3, v[8:9]
	v_add_co_ci_u32_e64 v6, null, s27, v6, vcc_lo
	v_subrev_nc_u32_e32 v19, s2, v7
	v_mov_b32_e32 v20, v13
	v_mov_b32_e32 v12, 0
	;; [unrolled: 1-line block ×4, first 2 shown]
	s_add_u32 s26, s22, 0xffffff80
	s_addc_u32 s27, s23, -1
	s_mov_b64 s[24:25], 0
	s_branch .LBB5_16
.LBB5_13:                               ;   in Loop: Header=BB5_16 Depth=1
	s_or_b32 exec_lo, exec_lo, s2
.LBB5_14:                               ;   in Loop: Header=BB5_16 Depth=1
	s_or_b32 exec_lo, exec_lo, s33
.LBB5_15:                               ;   in Loop: Header=BB5_16 Depth=1
	s_or_b32 exec_lo, exec_lo, s31
	v_add_nc_u32_e32 v16, 16, v16
	v_add_co_u32 v5, vcc_lo, v5, s20
	v_add_co_ci_u32_e64 v6, null, s21, v6, vcc_lo
	v_add_co_u32 v9, vcc_lo, v9, s22
	v_add_co_ci_u32_e64 v10, null, s23, v10, vcc_lo
	v_cmp_le_i32_e32 vcc_lo, s9, v16
	v_add_co_u32 v4, s2, v4, s26
	v_add_nc_u32_e32 v2, -16, v2
	v_add_co_ci_u32_e64 v20, null, s27, v20, s2
	s_add_u32 s24, s24, -16
	s_addc_u32 s25, s25, -1
	s_or_b32 s29, vcc_lo, s29
	s_andn2_b32 exec_lo, exec_lo, s29
	s_cbranch_execz .LBB5_40
.LBB5_16:                               ; =>This Inner Loop Header: Depth=1
	s_and_saveexec_b32 s31, s1
	s_cbranch_execz .LBB5_15
; %bb.17:                               ;   in Loop: Header=BB5_16 Depth=1
	v_cmp_gt_i32_e32 vcc_lo, v0, v16
	v_cndmask_b32_e64 v3, 0, 1, vcc_lo
	v_cmp_lt_i32_e32 vcc_lo, v0, v16
	v_cndmask_b32_e64 v11, 0, 1, vcc_lo
	v_cndmask_b32_e64 v3, v11, v3, s0
	v_and_b32_e32 v3, 1, v3
	v_cmp_eq_u32_e32 vcc_lo, 1, v3
	s_xor_b32 s2, vcc_lo, -1
	s_and_saveexec_b32 s33, s2
	s_xor_b32 s33, exec_lo, s33
	s_cbranch_execz .LBB5_37
; %bb.18:                               ;   in Loop: Header=BB5_16 Depth=1
	v_add_nc_u32_e32 v11, s24, v17
	v_cmp_le_i32_e32 vcc_lo, s10, v11
	v_cmp_gt_i32_e64 s2, 1, v11
	s_or_b32 s2, vcc_lo, s2
	s_and_saveexec_b32 s34, s2
	s_xor_b32 s2, exec_lo, s34
	s_cbranch_execz .LBB5_34
; %bb.19:                               ;   in Loop: Header=BB5_16 Depth=1
	s_mov_b32 s34, exec_lo
	v_cmpx_ne_u32_e32 0, v11
	s_xor_b32 s34, exec_lo, s34
	s_cbranch_execz .LBB5_27
; %bb.20:                               ;   in Loop: Header=BB5_16 Depth=1
	s_mov_b32 s35, exec_lo
	v_cmpx_eq_u32_e64 s10, v11
	s_cbranch_execz .LBB5_26
; %bb.21:                               ;   in Loop: Header=BB5_16 Depth=1
	s_and_b32 vcc_lo, exec_lo, s8
	s_mov_b32 s36, -1
                                        ; implicit-def: $vgpr3
                                        ; implicit-def: $vgpr11
	s_cbranch_vccz .LBB5_23
; %bb.22:                               ;   in Loop: Header=BB5_16 Depth=1
	v_add_co_u32 v13, vcc_lo, s18, v4
	v_add_co_ci_u32_e64 v14, null, s19, v20, vcc_lo
	s_mov_b32 s36, 0
	flat_load_dwordx2 v[21:22], v[5:6]
	flat_load_dwordx2 v[13:14], v[13:14]
	s_waitcnt vmcnt(0) lgkmcnt(0)
	v_mul_f32_e32 v3, v22, v14
	v_mul_f32_e32 v14, v21, v14
	v_fma_f32 v3, v21, v13, -v3
	v_fmac_f32_e32 v14, v22, v13
	v_add_f32_e32 v11, v7, v3
	v_add_f32_e32 v3, v8, v14
.LBB5_23:                               ;   in Loop: Header=BB5_16 Depth=1
	s_andn2_b32 vcc_lo, exec_lo, s36
	s_cbranch_vccnz .LBB5_25
; %bb.24:                               ;   in Loop: Header=BB5_16 Depth=1
	v_ashrrev_i32_e32 v3, 31, v2
	v_lshlrev_b64 v[13:14], 3, v[2:3]
	v_add_co_u32 v3, vcc_lo, v9, v13
	v_add_co_ci_u32_e64 v11, null, v10, v14, vcc_lo
	v_add_co_u32 v13, vcc_lo, s18, v3
	v_add_co_ci_u32_e64 v14, null, s19, v11, vcc_lo
	flat_load_dwordx2 v[21:22], v[5:6]
	flat_load_dword v3, v[13:14]
	s_waitcnt vmcnt(0) lgkmcnt(0)
	v_fmac_f32_e32 v8, v3, v22
	v_fmac_f32_e32 v7, v3, v21
	v_mov_b32_e32 v3, v8
	v_mov_b32_e32 v11, v7
.LBB5_25:                               ;   in Loop: Header=BB5_16 Depth=1
	v_mov_b32_e32 v8, v3
	v_mov_b32_e32 v7, v11
.LBB5_26:                               ;   in Loop: Header=BB5_16 Depth=1
	s_or_b32 exec_lo, exec_lo, s35
.LBB5_27:                               ;   in Loop: Header=BB5_16 Depth=1
	s_andn2_saveexec_b32 s34, s34
	s_cbranch_execz .LBB5_33
; %bb.28:                               ;   in Loop: Header=BB5_16 Depth=1
	v_add_co_u32 v13, vcc_lo, s18, v9
	v_add_co_ci_u32_e64 v14, null, s19, v10, vcc_lo
	s_andn2_b32 vcc_lo, exec_lo, s30
	s_mov_b32 s35, -1
                                        ; implicit-def: $vgpr11
                                        ; implicit-def: $vgpr3
	s_cbranch_vccnz .LBB5_30
; %bb.29:                               ;   in Loop: Header=BB5_16 Depth=1
	flat_load_dword v11, v[13:14]
	flat_load_dwordx2 v[21:22], v[5:6]
	s_mov_b32 s35, 0
	s_waitcnt vmcnt(0) lgkmcnt(0)
	v_fma_f32 v3, v11, v21, v7
	v_fma_f32 v11, v11, v22, v8
.LBB5_30:                               ;   in Loop: Header=BB5_16 Depth=1
	s_andn2_b32 vcc_lo, exec_lo, s35
	s_cbranch_vccnz .LBB5_32
; %bb.31:                               ;   in Loop: Header=BB5_16 Depth=1
	flat_load_dwordx2 v[13:14], v[13:14]
	flat_load_dwordx2 v[21:22], v[5:6]
	s_waitcnt vmcnt(0) lgkmcnt(0)
	v_mul_f32_e32 v3, v22, v14
	v_mul_f32_e32 v11, v21, v14
	v_fma_f32 v3, v21, v13, -v3
	v_fmac_f32_e32 v11, v22, v13
	v_add_f32_e32 v3, v7, v3
	v_add_f32_e32 v11, v8, v11
.LBB5_32:                               ;   in Loop: Header=BB5_16 Depth=1
	v_mov_b32_e32 v8, v11
	v_mov_b32_e32 v7, v3
.LBB5_33:                               ;   in Loop: Header=BB5_16 Depth=1
	s_or_b32 exec_lo, exec_lo, s34
.LBB5_34:                               ;   in Loop: Header=BB5_16 Depth=1
	s_andn2_saveexec_b32 s2, s2
	s_cbranch_execz .LBB5_36
; %bb.35:                               ;   in Loop: Header=BB5_16 Depth=1
	v_lshlrev_b64 v[13:14], 3, v[11:12]
	v_add_co_u32 v3, vcc_lo, v9, v13
	v_add_co_ci_u32_e64 v11, null, v10, v14, vcc_lo
	v_add_co_u32 v13, vcc_lo, s18, v3
	v_add_co_ci_u32_e64 v14, null, s19, v11, vcc_lo
	flat_load_dwordx2 v[21:22], v[5:6]
	flat_load_dwordx2 v[13:14], v[13:14]
	s_waitcnt vmcnt(0) lgkmcnt(0)
	v_mul_f32_e32 v3, v22, v14
	v_mul_f32_e32 v11, v21, v14
	v_fma_f32 v3, v21, v13, -v3
	v_fmac_f32_e32 v11, v22, v13
	v_add_f32_e32 v7, v7, v3
	v_add_f32_e32 v8, v8, v11
.LBB5_36:                               ;   in Loop: Header=BB5_16 Depth=1
	s_or_b32 exec_lo, exec_lo, s2
.LBB5_37:                               ;   in Loop: Header=BB5_16 Depth=1
	s_andn2_saveexec_b32 s33, s33
	s_cbranch_execz .LBB5_14
; %bb.38:                               ;   in Loop: Header=BB5_16 Depth=1
	v_add_nc_u32_e32 v11, v19, v16
	v_cmp_ge_i32_e32 vcc_lo, s10, v11
	v_cmp_lt_i32_e64 s2, -1, v11
	s_and_b32 s34, vcc_lo, s2
	s_and_saveexec_b32 s2, s34
	s_cbranch_execz .LBB5_13
; %bb.39:                               ;   in Loop: Header=BB5_16 Depth=1
	v_lshlrev_b64 v[13:14], 3, v[11:12]
	v_add_co_u32 v13, vcc_lo, v1, v13
	v_add_co_ci_u32_e64 v14, null, v18, v14, vcc_lo
	flat_load_dwordx2 v[21:22], v[5:6]
	flat_load_dwordx2 v[13:14], v[13:14]
	s_waitcnt vmcnt(0) lgkmcnt(0)
	v_mul_f32_e32 v3, v14, v22
	v_mul_f32_e32 v11, v14, v21
	v_fmac_f32_e32 v3, v13, v21
	v_fma_f32 v11, v13, v22, -v11
	v_add_f32_e32 v7, v7, v3
	v_add_f32_e32 v8, v8, v11
	s_branch .LBB5_13
.LBB5_40:
	s_or_b32 exec_lo, exec_lo, s29
.LBB5_41:
	s_or_b32 exec_lo, exec_lo, s3
	v_lshlrev_b32_e32 v0, 3, v15
	ds_write_b64 v0, v[7:8]
	s_waitcnt lgkmcnt(0)
	s_barrier
	buffer_gl0_inv
.LBB5_42:
	s_mov_b32 s0, exec_lo
	v_cmpx_gt_u32_e32 64, v15
	s_cbranch_execz .LBB5_54
; %bb.43:
	v_lshl_or_b32 v4, s6, 6, v15
	s_lshl_b64 s[2:3], s[14:15], 3
	s_waitcnt lgkmcnt(0)
	s_add_u32 s1, s12, s2
	s_addc_u32 s2, s13, s3
	v_cmp_gt_i32_e64 s0, s9, v4
	s_and_b32 vcc_lo, exec_lo, s28
	s_mov_b32 s3, -1
	s_cbranch_vccz .LBB5_49
; %bb.44:
	s_and_saveexec_b32 s3, s0
	s_cbranch_execz .LBB5_48
; %bb.45:
	v_ashrrev_i32_e32 v0, 31, v4
	v_mul_lo_u32 v2, s5, v4
	v_cmp_neq_f32_e64 s0, s16, 0
	v_cmp_neq_f32_e64 s6, s17, 0
	v_mul_lo_u32 v3, s4, v0
	v_mad_u64_u32 v[0:1], null, s4, v4, 0
	s_or_b32 s0, s0, s6
	s_andn2_b32 vcc_lo, exec_lo, s0
	v_add3_u32 v1, v1, v3, v2
	v_mov_b32_e32 v3, 0
	v_mov_b32_e32 v2, 0
	v_lshlrev_b64 v[0:1], 3, v[0:1]
	s_cbranch_vccnz .LBB5_47
; %bb.46:
	v_add_co_u32 v2, vcc_lo, s1, v0
	v_add_co_ci_u32_e64 v3, null, s2, v1, vcc_lo
	flat_load_dwordx2 v[5:6], v[2:3]
	s_waitcnt vmcnt(0) lgkmcnt(0)
	v_mul_f32_e32 v2, s17, v6
	v_mul_f32_e32 v3, s16, v6
	v_fma_f32 v2, s16, v5, -v2
	v_fmac_f32_e32 v3, s17, v5
.LBB5_47:
	v_add_co_u32 v0, vcc_lo, s1, v0
	v_add_co_ci_u32_e64 v1, null, s2, v1, vcc_lo
	flat_store_dwordx2 v[0:1], v[2:3]
.LBB5_48:
	s_or_b32 exec_lo, exec_lo, s3
	s_mov_b32 s3, 0
.LBB5_49:
	s_andn2_b32 vcc_lo, exec_lo, s3
	s_cbranch_vccnz .LBB5_54
; %bb.50:
	v_lshlrev_b32_e32 v13, 3, v15
	v_cmp_gt_i32_e32 vcc_lo, s9, v4
	ds_read2st64_b64 v[0:3], v13 offset1:1
	ds_read2st64_b64 v[5:8], v13 offset0:2 offset1:3
	ds_read2st64_b64 v[9:12], v13 offset0:4 offset1:5
	s_waitcnt lgkmcnt(2)
	v_add_f32_e32 v14, v0, v2
	v_add_f32_e32 v15, v1, v3
	ds_read2st64_b64 v[0:3], v13 offset0:6 offset1:7
	s_waitcnt lgkmcnt(2)
	v_add_f32_e32 v5, v14, v5
	v_add_f32_e32 v6, v15, v6
	v_add_f32_e32 v14, v5, v7
	v_add_f32_e32 v15, v6, v8
	ds_read2st64_b64 v[5:8], v13 offset0:8 offset1:9
	s_waitcnt lgkmcnt(2)
	v_add_f32_e32 v9, v14, v9
	v_add_f32_e32 v10, v15, v10
	;; [unrolled: 6-line block ×5, first 2 shown]
	v_add_f32_e32 v9, v9, v11
	v_add_f32_e32 v10, v10, v12
	s_waitcnt lgkmcnt(1)
	v_add_f32_e32 v0, v9, v0
	v_add_f32_e32 v1, v10, v1
	;; [unrolled: 1-line block ×4, first 2 shown]
	s_waitcnt lgkmcnt(0)
	v_add_f32_e32 v0, v0, v5
	v_add_f32_e32 v1, v1, v6
	;; [unrolled: 1-line block ×4, first 2 shown]
	ds_write_b64 v13, v[0:1]
	s_and_b32 exec_lo, exec_lo, vcc_lo
	s_cbranch_execz .LBB5_54
; %bb.51:
	v_ashrrev_i32_e32 v2, 31, v4
	v_mul_lo_u32 v5, s5, v4
	v_mad_u64_u32 v[3:4], null, s4, v4, 0
	v_mul_f32_e32 v6, s7, v1
	v_mul_lo_u32 v2, s4, v2
	v_cmp_neq_f32_e64 s0, s16, 0
	v_cmp_neq_f32_e64 s3, s17, 0
	s_or_b32 s0, s0, s3
	v_add3_u32 v4, v4, v2, v5
	v_mul_f32_e32 v2, s11, v1
	v_fma_f32 v1, v0, s11, -v6
	s_andn2_b32 vcc_lo, exec_lo, s0
	v_lshlrev_b64 v[3:4], 3, v[3:4]
	v_fmac_f32_e32 v2, s7, v0
	s_cbranch_vccnz .LBB5_53
; %bb.52:
	v_add_co_u32 v5, vcc_lo, s1, v3
	v_add_co_ci_u32_e64 v6, null, s2, v4, vcc_lo
	flat_load_dwordx2 v[5:6], v[5:6]
	s_waitcnt vmcnt(0) lgkmcnt(0)
	v_mul_f32_e32 v0, s17, v6
	v_mul_f32_e32 v6, s16, v6
	v_fma_f32 v0, s16, v5, -v0
	v_fmac_f32_e32 v6, s17, v5
	v_add_f32_e32 v1, v1, v0
	v_add_f32_e32 v2, v2, v6
.LBB5_53:
	v_add_co_u32 v3, vcc_lo, s1, v3
	v_add_co_ci_u32_e64 v4, null, s2, v4, vcc_lo
	flat_store_dwordx2 v[3:4], v[1:2]
.LBB5_54:
	s_endpgm
	.section	.rodata,"a",@progbits
	.p2align	6, 0x0
	.amdhsa_kernel _ZL20rocblas_hbmvn_kernelILi64ELi16E19rocblas_complex_numIfEPKPKS1_PKPS1_EvbiiT1_T2_lllSA_lllS9_T3_llli
		.amdhsa_group_segment_fixed_size 8192
		.amdhsa_private_segment_fixed_size 0
		.amdhsa_kernarg_size 392
		.amdhsa_user_sgpr_count 6
		.amdhsa_user_sgpr_private_segment_buffer 1
		.amdhsa_user_sgpr_dispatch_ptr 0
		.amdhsa_user_sgpr_queue_ptr 0
		.amdhsa_user_sgpr_kernarg_segment_ptr 1
		.amdhsa_user_sgpr_dispatch_id 0
		.amdhsa_user_sgpr_flat_scratch_init 0
		.amdhsa_user_sgpr_private_segment_size 0
		.amdhsa_wavefront_size32 1
		.amdhsa_uses_dynamic_stack 0
		.amdhsa_system_sgpr_private_segment_wavefront_offset 0
		.amdhsa_system_sgpr_workgroup_id_x 1
		.amdhsa_system_sgpr_workgroup_id_y 0
		.amdhsa_system_sgpr_workgroup_id_z 1
		.amdhsa_system_sgpr_workgroup_info 0
		.amdhsa_system_vgpr_workitem_id 1
		.amdhsa_next_free_vgpr 23
		.amdhsa_next_free_sgpr 37
		.amdhsa_reserve_vcc 1
		.amdhsa_reserve_flat_scratch 0
		.amdhsa_float_round_mode_32 0
		.amdhsa_float_round_mode_16_64 0
		.amdhsa_float_denorm_mode_32 3
		.amdhsa_float_denorm_mode_16_64 3
		.amdhsa_dx10_clamp 1
		.amdhsa_ieee_mode 1
		.amdhsa_fp16_overflow 0
		.amdhsa_workgroup_processor_mode 1
		.amdhsa_memory_ordered 1
		.amdhsa_forward_progress 1
		.amdhsa_shared_vgpr_count 0
		.amdhsa_exception_fp_ieee_invalid_op 0
		.amdhsa_exception_fp_denorm_src 0
		.amdhsa_exception_fp_ieee_div_zero 0
		.amdhsa_exception_fp_ieee_overflow 0
		.amdhsa_exception_fp_ieee_underflow 0
		.amdhsa_exception_fp_ieee_inexact 0
		.amdhsa_exception_int_div_zero 0
	.end_amdhsa_kernel
	.section	.text._ZL20rocblas_hbmvn_kernelILi64ELi16E19rocblas_complex_numIfEPKPKS1_PKPS1_EvbiiT1_T2_lllSA_lllS9_T3_llli,"axG",@progbits,_ZL20rocblas_hbmvn_kernelILi64ELi16E19rocblas_complex_numIfEPKPKS1_PKPS1_EvbiiT1_T2_lllSA_lllS9_T3_llli,comdat
.Lfunc_end5:
	.size	_ZL20rocblas_hbmvn_kernelILi64ELi16E19rocblas_complex_numIfEPKPKS1_PKPS1_EvbiiT1_T2_lllSA_lllS9_T3_llli, .Lfunc_end5-_ZL20rocblas_hbmvn_kernelILi64ELi16E19rocblas_complex_numIfEPKPKS1_PKPS1_EvbiiT1_T2_lllSA_lllS9_T3_llli
                                        ; -- End function
	.set _ZL20rocblas_hbmvn_kernelILi64ELi16E19rocblas_complex_numIfEPKPKS1_PKPS1_EvbiiT1_T2_lllSA_lllS9_T3_llli.num_vgpr, 23
	.set _ZL20rocblas_hbmvn_kernelILi64ELi16E19rocblas_complex_numIfEPKPKS1_PKPS1_EvbiiT1_T2_lllSA_lllS9_T3_llli.num_agpr, 0
	.set _ZL20rocblas_hbmvn_kernelILi64ELi16E19rocblas_complex_numIfEPKPKS1_PKPS1_EvbiiT1_T2_lllSA_lllS9_T3_llli.numbered_sgpr, 37
	.set _ZL20rocblas_hbmvn_kernelILi64ELi16E19rocblas_complex_numIfEPKPKS1_PKPS1_EvbiiT1_T2_lllSA_lllS9_T3_llli.num_named_barrier, 0
	.set _ZL20rocblas_hbmvn_kernelILi64ELi16E19rocblas_complex_numIfEPKPKS1_PKPS1_EvbiiT1_T2_lllSA_lllS9_T3_llli.private_seg_size, 0
	.set _ZL20rocblas_hbmvn_kernelILi64ELi16E19rocblas_complex_numIfEPKPKS1_PKPS1_EvbiiT1_T2_lllSA_lllS9_T3_llli.uses_vcc, 1
	.set _ZL20rocblas_hbmvn_kernelILi64ELi16E19rocblas_complex_numIfEPKPKS1_PKPS1_EvbiiT1_T2_lllSA_lllS9_T3_llli.uses_flat_scratch, 0
	.set _ZL20rocblas_hbmvn_kernelILi64ELi16E19rocblas_complex_numIfEPKPKS1_PKPS1_EvbiiT1_T2_lllSA_lllS9_T3_llli.has_dyn_sized_stack, 0
	.set _ZL20rocblas_hbmvn_kernelILi64ELi16E19rocblas_complex_numIfEPKPKS1_PKPS1_EvbiiT1_T2_lllSA_lllS9_T3_llli.has_recursion, 0
	.set _ZL20rocblas_hbmvn_kernelILi64ELi16E19rocblas_complex_numIfEPKPKS1_PKPS1_EvbiiT1_T2_lllSA_lllS9_T3_llli.has_indirect_call, 0
	.section	.AMDGPU.csdata,"",@progbits
; Kernel info:
; codeLenInByte = 2192
; TotalNumSgprs: 39
; NumVgprs: 23
; ScratchSize: 0
; MemoryBound: 0
; FloatMode: 240
; IeeeMode: 1
; LDSByteSize: 8192 bytes/workgroup (compile time only)
; SGPRBlocks: 0
; VGPRBlocks: 2
; NumSGPRsForWavesPerEU: 39
; NumVGPRsForWavesPerEU: 23
; Occupancy: 16
; WaveLimiterHint : 1
; COMPUTE_PGM_RSRC2:SCRATCH_EN: 0
; COMPUTE_PGM_RSRC2:USER_SGPR: 6
; COMPUTE_PGM_RSRC2:TRAP_HANDLER: 0
; COMPUTE_PGM_RSRC2:TGID_X_EN: 1
; COMPUTE_PGM_RSRC2:TGID_Y_EN: 0
; COMPUTE_PGM_RSRC2:TGID_Z_EN: 1
; COMPUTE_PGM_RSRC2:TIDIG_COMP_CNT: 1
	.section	.text._ZL20rocblas_hbmvn_kernelILi64ELi16EPK19rocblas_complex_numIdEPKS3_PKPS1_EvbiiT1_T2_lllSA_lllS9_T3_llli,"axG",@progbits,_ZL20rocblas_hbmvn_kernelILi64ELi16EPK19rocblas_complex_numIdEPKS3_PKPS1_EvbiiT1_T2_lllSA_lllS9_T3_llli,comdat
	.globl	_ZL20rocblas_hbmvn_kernelILi64ELi16EPK19rocblas_complex_numIdEPKS3_PKPS1_EvbiiT1_T2_lllSA_lllS9_T3_llli ; -- Begin function _ZL20rocblas_hbmvn_kernelILi64ELi16EPK19rocblas_complex_numIdEPKS3_PKPS1_EvbiiT1_T2_lllSA_lllS9_T3_llli
	.p2align	8
	.type	_ZL20rocblas_hbmvn_kernelILi64ELi16EPK19rocblas_complex_numIdEPKS3_PKPS1_EvbiiT1_T2_lllSA_lllS9_T3_llli,@function
_ZL20rocblas_hbmvn_kernelILi64ELi16EPK19rocblas_complex_numIdEPKS3_PKPS1_EvbiiT1_T2_lllSA_lllS9_T3_llli: ; @_ZL20rocblas_hbmvn_kernelILi64ELi16EPK19rocblas_complex_numIdEPKS3_PKPS1_EvbiiT1_T2_lllSA_lllS9_T3_llli
; %bb.0:
	s_load_dwordx2 s[2:3], s[4:5], 0x94
	s_waitcnt lgkmcnt(0)
	s_lshr_b32 s1, s2, 16
	s_and_b32 s33, s2, 0xffff
	s_and_b32 s2, s3, 0xffff
	s_mul_i32 s1, s1, s33
	s_mul_i32 s1, s1, s2
	s_cmpk_lg_i32 s1, 0x400
	s_cbranch_scc1 .LBB6_56
; %bb.1:
	s_load_dwordx8 s[16:23], s[4:5], 0x10
	s_mov_b32 s0, s7
	s_mov_b32 s2, -1
	s_waitcnt lgkmcnt(0)
	s_load_dwordx4 s[28:31], s[16:17], 0x0
	s_load_dwordx8 s[8:15], s[4:5], 0x58
	s_mov_b64 s[16:17], 0
	s_waitcnt lgkmcnt(0)
	v_cmp_neq_f64_e64 s1, s[28:29], 0
	v_cmp_neq_f64_e64 s3, s[30:31], 0
	s_load_dwordx4 s[24:27], s[8:9], 0x0
	s_or_b32 s7, s1, s3
	s_mov_b32 s1, 0
	s_and_b32 vcc_lo, exec_lo, s7
	s_mov_b64 s[8:9], s[0:1]
	s_mov_b32 s3, s1
	s_cbranch_vccnz .LBB6_4
; %bb.2:
	s_waitcnt lgkmcnt(0)
	v_cmp_eq_f64_e64 s2, s[24:25], 1.0
	v_cmp_eq_f64_e64 s3, s[26:27], 0
                                        ; implicit-def: $sgpr8_sgpr9
	s_and_b32 s3, s2, s3
	s_mov_b32 s2, 0
	s_andn2_b32 vcc_lo, exec_lo, s3
	s_mov_b32 s3, 0
	s_cbranch_vccz .LBB6_4
; %bb.3:
	s_mov_b32 s9, 0
	s_mov_b32 s8, s0
	s_mov_b32 s3, -1
.LBB6_4:
	s_and_b32 vcc_lo, exec_lo, s2
	s_cbranch_vccz .LBB6_6
; %bb.5:
	s_lshl_b64 s[0:1], s[0:1], 3
	s_add_u32 s0, s18, s0
	s_addc_u32 s1, s19, s1
	s_lshl_b64 s[2:3], s[20:21], 4
	s_load_dwordx2 s[0:1], s[0:1], 0x0
	s_waitcnt lgkmcnt(0)
	s_add_u32 s16, s0, s2
	s_addc_u32 s17, s1, s3
	s_mov_b32 s3, -1
.LBB6_6:
	s_andn2_b32 vcc_lo, exec_lo, s3
	s_cbranch_vccnz .LBB6_56
; %bb.7:
	s_clause 0x1
	s_load_dwordx4 s[0:3], s[4:5], 0x38
	s_load_dwordx2 s[18:19], s[4:5], 0x48
	s_andn2_b32 vcc_lo, exec_lo, s7
	s_mov_b64 s[34:35], 0
	s_cbranch_vccnz .LBB6_9
; %bb.8:
	s_lshl_b64 s[20:21], s[8:9], 3
	s_waitcnt lgkmcnt(0)
	s_add_u32 s0, s0, s20
	s_addc_u32 s1, s1, s21
	s_lshl_b64 s[2:3], s[2:3], 4
	s_load_dwordx2 s[0:1], s[0:1], 0x0
	s_waitcnt lgkmcnt(0)
	s_add_u32 s34, s0, s2
	s_addc_u32 s35, s1, s3
.LBB6_9:
	s_waitcnt lgkmcnt(0)
	s_lshl_b64 s[0:1], s[8:9], 3
	v_mad_u32_u24 v21, v1, s33, v0
	s_add_u32 s0, s10, s0
	s_addc_u32 s1, s11, s1
	s_load_dwordx4 s[8:11], s[4:5], 0x0
	s_load_dwordx2 s[4:5], s[0:1], 0x0
	s_andn2_b32 vcc_lo, exec_lo, s7
	s_cbranch_vccnz .LBB6_41
; %bb.10:
	v_mov_b32_e32 v2, 0
	v_mov_b32_e32 v0, 0
	v_lshrrev_b32_e32 v22, 6, v21
	v_mov_b32_e32 v3, 0
	v_mov_b32_e32 v1, 0
	s_mov_b32 s3, exec_lo
	s_waitcnt lgkmcnt(0)
	v_cmpx_gt_i32_e64 s9, v22
	s_cbranch_execz .LBB6_40
; %bb.11:
	v_and_b32_e32 v10, 63, v21
	s_lshl_b32 s2, s6, 6
	v_mad_u64_u32 v[0:1], null, s18, v22, 0
	s_bitcmp1_b32 s8, 0
	v_or_b32_e32 v4, s2, v10
	v_add3_u32 v6, s10, s2, v10
	s_cselect_b32 s0, -1, 0
	v_mad_u64_u32 v[11:12], null, s22, v22, 0
	v_ashrrev_i32_e32 v5, 31, v4
	v_mul_lo_u32 v7, s23, v4
	v_mad_u64_u32 v[2:3], null, s22, v4, 0
	v_sub_nc_u32_e32 v6, v6, v22
	v_mul_lo_u32 v9, s22, v5
	v_sub_nc_u32_e32 v8, v4, v22
	s_and_b32 s1, s0, exec_lo
	s_cselect_b32 s38, s10, 0
	s_xor_b32 s8, s0, -1
	s_cmp_eq_u32 s10, 0
	v_cndmask_b32_e64 v23, v8, v6, s0
	s_cselect_b32 s20, -1, 0
	v_add3_u32 v3, v3, v9, v7
	s_lshl_b64 s[36:37], s[22:23], 4
	s_or_b32 s33, s8, s20
	s_lshl_b64 s[20:21], s[22:23], 8
	v_cmp_gt_i32_e64 s1, s9, v4
	v_lshlrev_b64 v[2:3], 4, v[2:3]
	v_mov_b32_e32 v14, 0
	s_mov_b32 s11, 0
	v_mad_u64_u32 v[7:8], null, s19, v22, v[1:2]
	v_lshlrev_b64 v[8:9], 4, v[4:5]
	s_lshl_b64 s[18:19], s[18:19], 8
	s_add_u32 s22, s36, -16
	v_mov_b32_e32 v5, v12
	v_mad_u64_u32 v[8:9], null, v22, s22, v[8:9]
	v_mov_b32_e32 v1, v7
	v_mad_u64_u32 v[12:13], null, s23, v22, v[5:6]
	v_add_co_u32 v5, vcc_lo, s16, v2
	s_addc_u32 s22, s37, -1
	v_mov_b32_e32 v2, v9
	v_add_co_ci_u32_e64 v24, null, s17, v3, vcc_lo
	v_lshlrev_b64 v[0:1], 4, v[0:1]
	v_sub_nc_u32_e32 v7, s38, v10
	v_mad_u64_u32 v[2:3], null, v22, s22, v[2:3]
	v_lshlrev_b64 v[11:12], 4, v[11:12]
	s_mov_b64 s[22:23], 0
	v_add_co_u32 v9, vcc_lo, s34, v0
	v_add_co_ci_u32_e64 v10, null, s35, v1, vcc_lo
	v_mov_b32_e32 v26, v2
	v_mov_b32_e32 v2, 0
	;; [unrolled: 1-line block ×3, first 2 shown]
	v_subrev_nc_u32_e32 v25, s2, v7
	v_mov_b32_e32 v3, 0
	v_mov_b32_e32 v1, 0
	s_add_u32 s34, s20, 0xffffff00
	s_addc_u32 s35, s21, -1
	s_branch .LBB6_15
.LBB6_12:                               ;   in Loop: Header=BB6_15 Depth=1
	s_or_b32 exec_lo, exec_lo, s2
.LBB6_13:                               ;   in Loop: Header=BB6_15 Depth=1
	s_or_b32 exec_lo, exec_lo, s37
.LBB6_14:                               ;   in Loop: Header=BB6_15 Depth=1
	s_or_b32 exec_lo, exec_lo, s36
	v_add_nc_u32_e32 v22, 16, v22
	v_add_co_u32 v9, vcc_lo, v9, s18
	v_add_co_ci_u32_e64 v10, null, s19, v10, vcc_lo
	v_add_co_u32 v11, vcc_lo, v11, s20
	v_add_co_ci_u32_e64 v12, null, s21, v12, vcc_lo
	v_cmp_le_i32_e32 vcc_lo, s9, v22
	v_add_co_u32 v8, s2, v8, s34
	v_add_nc_u32_e32 v6, -16, v6
	v_add_co_ci_u32_e64 v26, null, s35, v26, s2
	s_add_u32 s22, s22, -16
	s_addc_u32 s23, s23, -1
	s_or_b32 s11, vcc_lo, s11
	s_andn2_b32 exec_lo, exec_lo, s11
	s_cbranch_execz .LBB6_39
.LBB6_15:                               ; =>This Inner Loop Header: Depth=1
	s_and_saveexec_b32 s36, s1
	s_cbranch_execz .LBB6_14
; %bb.16:                               ;   in Loop: Header=BB6_15 Depth=1
	v_cmp_gt_i32_e32 vcc_lo, v4, v22
	v_cndmask_b32_e64 v7, 0, 1, vcc_lo
	v_cmp_lt_i32_e32 vcc_lo, v4, v22
	v_cndmask_b32_e64 v13, 0, 1, vcc_lo
	v_cndmask_b32_e64 v7, v13, v7, s0
	v_and_b32_e32 v7, 1, v7
	v_cmp_eq_u32_e32 vcc_lo, 1, v7
	s_xor_b32 s2, vcc_lo, -1
	s_and_saveexec_b32 s37, s2
	s_xor_b32 s37, exec_lo, s37
	s_cbranch_execz .LBB6_36
; %bb.17:                               ;   in Loop: Header=BB6_15 Depth=1
	v_add_nc_u32_e32 v13, s22, v23
	v_cmp_le_i32_e32 vcc_lo, s10, v13
	v_cmp_gt_i32_e64 s2, 1, v13
	s_or_b32 s2, vcc_lo, s2
	s_and_saveexec_b32 s38, s2
	s_xor_b32 s2, exec_lo, s38
	s_cbranch_execz .LBB6_33
; %bb.18:                               ;   in Loop: Header=BB6_15 Depth=1
	s_mov_b32 s38, exec_lo
	v_cmpx_ne_u32_e32 0, v13
	s_xor_b32 s38, exec_lo, s38
	s_cbranch_execz .LBB6_26
; %bb.19:                               ;   in Loop: Header=BB6_15 Depth=1
	s_mov_b32 s39, exec_lo
	v_cmpx_eq_u32_e64 s10, v13
	s_cbranch_execz .LBB6_25
; %bb.20:                               ;   in Loop: Header=BB6_15 Depth=1
	s_and_b32 vcc_lo, exec_lo, s8
	s_mov_b32 s40, -1
                                        ; implicit-def: $vgpr17_vgpr18
                                        ; implicit-def: $vgpr15_vgpr16
	s_cbranch_vccz .LBB6_22
; %bb.21:                               ;   in Loop: Header=BB6_15 Depth=1
	v_add_co_u32 v19, vcc_lo, s16, v8
	v_add_co_ci_u32_e64 v20, null, s17, v26, vcc_lo
	s_mov_b32 s40, 0
	flat_load_dwordx4 v[15:18], v[9:10]
	flat_load_dwordx4 v[27:30], v[19:20]
	s_waitcnt vmcnt(0) lgkmcnt(0)
	v_mul_f64 v[19:20], v[17:18], v[29:30]
	v_mul_f64 v[29:30], v[15:16], v[29:30]
	v_fma_f64 v[15:16], v[15:16], v[27:28], -v[19:20]
	v_fma_f64 v[17:18], v[17:18], v[27:28], v[29:30]
	v_add_f64 v[15:16], v[0:1], v[15:16]
	v_add_f64 v[17:18], v[2:3], v[17:18]
.LBB6_22:                               ;   in Loop: Header=BB6_15 Depth=1
	s_andn2_b32 vcc_lo, exec_lo, s40
	s_cbranch_vccnz .LBB6_24
; %bb.23:                               ;   in Loop: Header=BB6_15 Depth=1
	v_ashrrev_i32_e32 v7, 31, v6
	v_lshlrev_b64 v[15:16], 4, v[6:7]
	v_add_co_u32 v7, vcc_lo, v11, v15
	v_add_co_ci_u32_e64 v13, null, v12, v16, vcc_lo
	v_add_co_u32 v19, vcc_lo, s16, v7
	v_add_co_ci_u32_e64 v20, null, s17, v13, vcc_lo
	flat_load_dwordx4 v[15:18], v[9:10]
	flat_load_dwordx2 v[19:20], v[19:20]
	s_waitcnt vmcnt(0) lgkmcnt(0)
	v_fma_f64 v[15:16], v[19:20], v[15:16], v[0:1]
	v_fma_f64 v[17:18], v[19:20], v[17:18], v[2:3]
.LBB6_24:                               ;   in Loop: Header=BB6_15 Depth=1
	v_mov_b32_e32 v2, v17
	v_mov_b32_e32 v0, v15
	;; [unrolled: 1-line block ×4, first 2 shown]
.LBB6_25:                               ;   in Loop: Header=BB6_15 Depth=1
	s_or_b32 exec_lo, exec_lo, s39
.LBB6_26:                               ;   in Loop: Header=BB6_15 Depth=1
	s_andn2_saveexec_b32 s38, s38
	s_cbranch_execz .LBB6_32
; %bb.27:                               ;   in Loop: Header=BB6_15 Depth=1
	v_add_co_u32 v15, vcc_lo, s16, v11
	v_add_co_ci_u32_e64 v16, null, s17, v12, vcc_lo
	s_andn2_b32 vcc_lo, exec_lo, s33
	s_mov_b32 s39, -1
                                        ; implicit-def: $vgpr19_vgpr20
                                        ; implicit-def: $vgpr17_vgpr18
	s_cbranch_vccnz .LBB6_29
; %bb.28:                               ;   in Loop: Header=BB6_15 Depth=1
	flat_load_dwordx2 v[27:28], v[15:16]
	flat_load_dwordx4 v[17:20], v[9:10]
	s_mov_b32 s39, 0
	s_waitcnt vmcnt(0) lgkmcnt(0)
	v_fma_f64 v[17:18], v[27:28], v[17:18], v[0:1]
	v_fma_f64 v[19:20], v[27:28], v[19:20], v[2:3]
.LBB6_29:                               ;   in Loop: Header=BB6_15 Depth=1
	s_andn2_b32 vcc_lo, exec_lo, s39
	s_cbranch_vccnz .LBB6_31
; %bb.30:                               ;   in Loop: Header=BB6_15 Depth=1
	flat_load_dwordx4 v[17:20], v[9:10]
	flat_load_dwordx4 v[27:30], v[15:16]
	s_waitcnt vmcnt(0) lgkmcnt(0)
	v_mul_f64 v[15:16], v[19:20], v[29:30]
	v_mul_f64 v[29:30], v[17:18], v[29:30]
	v_fma_f64 v[15:16], v[17:18], v[27:28], -v[15:16]
	v_fma_f64 v[19:20], v[19:20], v[27:28], v[29:30]
	v_add_f64 v[17:18], v[0:1], v[15:16]
	v_add_f64 v[19:20], v[2:3], v[19:20]
.LBB6_31:                               ;   in Loop: Header=BB6_15 Depth=1
	v_mov_b32_e32 v2, v19
	v_mov_b32_e32 v0, v17
	;; [unrolled: 1-line block ×4, first 2 shown]
.LBB6_32:                               ;   in Loop: Header=BB6_15 Depth=1
	s_or_b32 exec_lo, exec_lo, s38
.LBB6_33:                               ;   in Loop: Header=BB6_15 Depth=1
	s_andn2_saveexec_b32 s2, s2
	s_cbranch_execz .LBB6_35
; %bb.34:                               ;   in Loop: Header=BB6_15 Depth=1
	v_lshlrev_b64 v[15:16], 4, v[13:14]
	v_add_co_u32 v7, vcc_lo, v11, v15
	v_add_co_ci_u32_e64 v13, null, v12, v16, vcc_lo
	v_add_co_u32 v19, vcc_lo, s16, v7
	v_add_co_ci_u32_e64 v20, null, s17, v13, vcc_lo
	flat_load_dwordx4 v[15:18], v[9:10]
	flat_load_dwordx4 v[27:30], v[19:20]
	s_waitcnt vmcnt(0) lgkmcnt(0)
	v_mul_f64 v[19:20], v[17:18], v[29:30]
	v_mul_f64 v[29:30], v[15:16], v[29:30]
	v_fma_f64 v[15:16], v[15:16], v[27:28], -v[19:20]
	v_fma_f64 v[17:18], v[17:18], v[27:28], v[29:30]
	v_add_f64 v[0:1], v[0:1], v[15:16]
	v_add_f64 v[2:3], v[2:3], v[17:18]
.LBB6_35:                               ;   in Loop: Header=BB6_15 Depth=1
	s_or_b32 exec_lo, exec_lo, s2
.LBB6_36:                               ;   in Loop: Header=BB6_15 Depth=1
	s_andn2_saveexec_b32 s37, s37
	s_cbranch_execz .LBB6_13
; %bb.37:                               ;   in Loop: Header=BB6_15 Depth=1
	v_add_nc_u32_e32 v13, v25, v22
	v_cmp_ge_i32_e32 vcc_lo, s10, v13
	v_cmp_lt_i32_e64 s2, -1, v13
	s_and_b32 s38, vcc_lo, s2
	s_and_saveexec_b32 s2, s38
	s_cbranch_execz .LBB6_12
; %bb.38:                               ;   in Loop: Header=BB6_15 Depth=1
	v_lshlrev_b64 v[15:16], 4, v[13:14]
	v_add_co_u32 v19, vcc_lo, v5, v15
	v_add_co_ci_u32_e64 v20, null, v24, v16, vcc_lo
	flat_load_dwordx4 v[15:18], v[9:10]
	flat_load_dwordx4 v[27:30], v[19:20]
	s_waitcnt vmcnt(0) lgkmcnt(0)
	v_mul_f64 v[19:20], v[29:30], v[17:18]
	v_mul_f64 v[29:30], v[29:30], v[15:16]
	v_fma_f64 v[15:16], v[27:28], v[15:16], v[19:20]
	v_fma_f64 v[17:18], v[27:28], v[17:18], -v[29:30]
	v_add_f64 v[0:1], v[0:1], v[15:16]
	v_add_f64 v[2:3], v[2:3], v[17:18]
	s_branch .LBB6_12
.LBB6_39:
	s_or_b32 exec_lo, exec_lo, s11
.LBB6_40:
	s_or_b32 exec_lo, exec_lo, s3
	v_lshlrev_b32_e32 v4, 4, v21
	ds_write_b128 v4, v[0:3]
	s_waitcnt lgkmcnt(0)
	s_barrier
	buffer_gl0_inv
.LBB6_41:
	s_mov_b32 s0, exec_lo
	v_cmpx_gt_u32_e32 64, v21
	s_cbranch_execz .LBB6_56
; %bb.42:
	v_lshl_or_b32 v10, s6, 6, v21
	s_lshl_b64 s[2:3], s[12:13], 4
	s_xor_b32 s0, s7, -1
	s_waitcnt lgkmcnt(0)
	s_add_u32 s1, s4, s2
	s_addc_u32 s2, s5, s3
	s_and_b32 vcc_lo, exec_lo, s0
	v_cmp_gt_i32_e64 s0, s9, v10
	s_cbranch_vccz .LBB6_48
; %bb.43:
	s_mov_b32 s4, 0
	s_mov_b32 s3, 0
                                        ; implicit-def: $vgpr2_vgpr3
                                        ; implicit-def: $vgpr8_vgpr9
	s_and_saveexec_b32 s5, s0
	s_xor_b32 s0, exec_lo, s5
	s_cbranch_execz .LBB6_47
; %bb.44:
	v_cmp_neq_f64_e64 s3, s[24:25], 0
	v_cmp_neq_f64_e64 s5, s[26:27], 0
	v_ashrrev_i32_e32 v0, 31, v10
	v_mul_lo_u32 v4, s15, v10
	v_mad_u64_u32 v[8:9], null, s14, v10, 0
	v_mov_b32_e32 v2, 0
	v_mul_lo_u32 v5, s14, v0
	v_mov_b32_e32 v0, 0
	v_mov_b32_e32 v3, 0
	;; [unrolled: 1-line block ×3, first 2 shown]
	v_add3_u32 v9, v9, v5, v4
	s_or_b32 s3, s3, s5
	s_andn2_b32 vcc_lo, exec_lo, s3
	s_cbranch_vccnz .LBB6_46
; %bb.45:
	v_lshlrev_b64 v[0:1], 4, v[8:9]
	v_add_co_u32 v0, vcc_lo, s1, v0
	v_add_co_ci_u32_e64 v1, null, s2, v1, vcc_lo
	flat_load_dwordx4 v[2:5], v[0:1]
	s_waitcnt vmcnt(0) lgkmcnt(0)
	v_mul_f64 v[0:1], s[26:27], v[4:5]
	v_mul_f64 v[4:5], s[24:25], v[4:5]
	v_fma_f64 v[0:1], s[24:25], v[2:3], -v[0:1]
	v_fma_f64 v[2:3], s[26:27], v[2:3], v[4:5]
.LBB6_46:
	s_mov_b32 s3, exec_lo
.LBB6_47:
	s_or_b32 exec_lo, exec_lo, s0
	s_and_b32 vcc_lo, exec_lo, s4
	s_cbranch_vccnz .LBB6_49
	s_branch .LBB6_54
.LBB6_48:
	s_mov_b32 s3, 0
                                        ; implicit-def: $vgpr2_vgpr3
                                        ; implicit-def: $vgpr8_vgpr9
	s_cbranch_execz .LBB6_54
.LBB6_49:
	v_lshlrev_b32_e32 v13, 4, v21
	s_mov_b32 s0, exec_lo
	ds_read_b128 v[0:3], v13
	ds_read_b128 v[4:7], v13 offset:1024
	s_waitcnt lgkmcnt(0)
	v_add_f64 v[8:9], v[0:1], v[4:5]
	v_add_f64 v[11:12], v[2:3], v[6:7]
	ds_read_b128 v[0:3], v13 offset:2048
	ds_read_b128 v[4:7], v13 offset:3072
	s_waitcnt lgkmcnt(1)
	v_add_f64 v[0:1], v[8:9], v[0:1]
	v_add_f64 v[2:3], v[11:12], v[2:3]
	s_waitcnt lgkmcnt(0)
	v_add_f64 v[8:9], v[0:1], v[4:5]
	v_add_f64 v[11:12], v[2:3], v[6:7]
	ds_read_b128 v[0:3], v13 offset:4096
	ds_read_b128 v[4:7], v13 offset:5120
	s_waitcnt lgkmcnt(1)
	v_add_f64 v[0:1], v[8:9], v[0:1]
	v_add_f64 v[2:3], v[11:12], v[2:3]
	;; [unrolled: 8-line block ×7, first 2 shown]
                                        ; implicit-def: $vgpr8_vgpr9
	s_waitcnt lgkmcnt(0)
	v_add_f64 v[4:5], v[0:1], v[4:5]
	v_add_f64 v[6:7], v[2:3], v[6:7]
                                        ; implicit-def: $vgpr2_vgpr3
	ds_write_b128 v13, v[4:7]
	v_cmpx_gt_i32_e64 s9, v10
	s_cbranch_execz .LBB6_53
; %bb.50:
	v_mul_f64 v[0:1], s[30:31], v[6:7]
	v_mul_f64 v[2:3], s[28:29], v[6:7]
	v_cmp_neq_f64_e64 s4, s[24:25], 0
	v_cmp_neq_f64_e64 s5, s[26:27], 0
	v_mad_u64_u32 v[8:9], null, s14, v10, 0
	v_fma_f64 v[0:1], s[28:29], v[4:5], -v[0:1]
	v_fma_f64 v[2:3], s[30:31], v[4:5], v[2:3]
	v_ashrrev_i32_e32 v4, 31, v10
	v_mul_lo_u32 v5, s15, v10
	s_or_b32 s4, s4, s5
	s_andn2_b32 vcc_lo, exec_lo, s4
	v_mul_lo_u32 v4, s14, v4
	v_add3_u32 v9, v9, v4, v5
	s_cbranch_vccnz .LBB6_52
; %bb.51:
	v_lshlrev_b64 v[4:5], 4, v[8:9]
	v_add_co_u32 v4, vcc_lo, s1, v4
	v_add_co_ci_u32_e64 v5, null, s2, v5, vcc_lo
	flat_load_dwordx4 v[4:7], v[4:5]
	s_waitcnt vmcnt(0) lgkmcnt(0)
	v_mul_f64 v[10:11], s[26:27], v[6:7]
	v_mul_f64 v[6:7], s[24:25], v[6:7]
	v_fma_f64 v[10:11], s[24:25], v[4:5], -v[10:11]
	v_fma_f64 v[4:5], s[26:27], v[4:5], v[6:7]
	v_add_f64 v[0:1], v[0:1], v[10:11]
	v_add_f64 v[2:3], v[2:3], v[4:5]
.LBB6_52:
	s_or_b32 s3, s3, exec_lo
.LBB6_53:
	s_or_b32 exec_lo, exec_lo, s0
.LBB6_54:
	s_and_b32 exec_lo, exec_lo, s3
	s_cbranch_execz .LBB6_56
; %bb.55:
	v_lshlrev_b64 v[4:5], 4, v[8:9]
	v_add_co_u32 v4, vcc_lo, s1, v4
	v_add_co_ci_u32_e64 v5, null, s2, v5, vcc_lo
	flat_store_dwordx4 v[4:5], v[0:3]
.LBB6_56:
	s_endpgm
	.section	.rodata,"a",@progbits
	.p2align	6, 0x0
	.amdhsa_kernel _ZL20rocblas_hbmvn_kernelILi64ELi16EPK19rocblas_complex_numIdEPKS3_PKPS1_EvbiiT1_T2_lllSA_lllS9_T3_llli
		.amdhsa_group_segment_fixed_size 16384
		.amdhsa_private_segment_fixed_size 0
		.amdhsa_kernarg_size 392
		.amdhsa_user_sgpr_count 6
		.amdhsa_user_sgpr_private_segment_buffer 1
		.amdhsa_user_sgpr_dispatch_ptr 0
		.amdhsa_user_sgpr_queue_ptr 0
		.amdhsa_user_sgpr_kernarg_segment_ptr 1
		.amdhsa_user_sgpr_dispatch_id 0
		.amdhsa_user_sgpr_flat_scratch_init 0
		.amdhsa_user_sgpr_private_segment_size 0
		.amdhsa_wavefront_size32 1
		.amdhsa_uses_dynamic_stack 0
		.amdhsa_system_sgpr_private_segment_wavefront_offset 0
		.amdhsa_system_sgpr_workgroup_id_x 1
		.amdhsa_system_sgpr_workgroup_id_y 0
		.amdhsa_system_sgpr_workgroup_id_z 1
		.amdhsa_system_sgpr_workgroup_info 0
		.amdhsa_system_vgpr_workitem_id 1
		.amdhsa_next_free_vgpr 31
		.amdhsa_next_free_sgpr 41
		.amdhsa_reserve_vcc 1
		.amdhsa_reserve_flat_scratch 0
		.amdhsa_float_round_mode_32 0
		.amdhsa_float_round_mode_16_64 0
		.amdhsa_float_denorm_mode_32 3
		.amdhsa_float_denorm_mode_16_64 3
		.amdhsa_dx10_clamp 1
		.amdhsa_ieee_mode 1
		.amdhsa_fp16_overflow 0
		.amdhsa_workgroup_processor_mode 1
		.amdhsa_memory_ordered 1
		.amdhsa_forward_progress 1
		.amdhsa_shared_vgpr_count 0
		.amdhsa_exception_fp_ieee_invalid_op 0
		.amdhsa_exception_fp_denorm_src 0
		.amdhsa_exception_fp_ieee_div_zero 0
		.amdhsa_exception_fp_ieee_overflow 0
		.amdhsa_exception_fp_ieee_underflow 0
		.amdhsa_exception_fp_ieee_inexact 0
		.amdhsa_exception_int_div_zero 0
	.end_amdhsa_kernel
	.section	.text._ZL20rocblas_hbmvn_kernelILi64ELi16EPK19rocblas_complex_numIdEPKS3_PKPS1_EvbiiT1_T2_lllSA_lllS9_T3_llli,"axG",@progbits,_ZL20rocblas_hbmvn_kernelILi64ELi16EPK19rocblas_complex_numIdEPKS3_PKPS1_EvbiiT1_T2_lllSA_lllS9_T3_llli,comdat
.Lfunc_end6:
	.size	_ZL20rocblas_hbmvn_kernelILi64ELi16EPK19rocblas_complex_numIdEPKS3_PKPS1_EvbiiT1_T2_lllSA_lllS9_T3_llli, .Lfunc_end6-_ZL20rocblas_hbmvn_kernelILi64ELi16EPK19rocblas_complex_numIdEPKS3_PKPS1_EvbiiT1_T2_lllSA_lllS9_T3_llli
                                        ; -- End function
	.set _ZL20rocblas_hbmvn_kernelILi64ELi16EPK19rocblas_complex_numIdEPKS3_PKPS1_EvbiiT1_T2_lllSA_lllS9_T3_llli.num_vgpr, 31
	.set _ZL20rocblas_hbmvn_kernelILi64ELi16EPK19rocblas_complex_numIdEPKS3_PKPS1_EvbiiT1_T2_lllSA_lllS9_T3_llli.num_agpr, 0
	.set _ZL20rocblas_hbmvn_kernelILi64ELi16EPK19rocblas_complex_numIdEPKS3_PKPS1_EvbiiT1_T2_lllSA_lllS9_T3_llli.numbered_sgpr, 41
	.set _ZL20rocblas_hbmvn_kernelILi64ELi16EPK19rocblas_complex_numIdEPKS3_PKPS1_EvbiiT1_T2_lllSA_lllS9_T3_llli.num_named_barrier, 0
	.set _ZL20rocblas_hbmvn_kernelILi64ELi16EPK19rocblas_complex_numIdEPKS3_PKPS1_EvbiiT1_T2_lllSA_lllS9_T3_llli.private_seg_size, 0
	.set _ZL20rocblas_hbmvn_kernelILi64ELi16EPK19rocblas_complex_numIdEPKS3_PKPS1_EvbiiT1_T2_lllSA_lllS9_T3_llli.uses_vcc, 1
	.set _ZL20rocblas_hbmvn_kernelILi64ELi16EPK19rocblas_complex_numIdEPKS3_PKPS1_EvbiiT1_T2_lllSA_lllS9_T3_llli.uses_flat_scratch, 0
	.set _ZL20rocblas_hbmvn_kernelILi64ELi16EPK19rocblas_complex_numIdEPKS3_PKPS1_EvbiiT1_T2_lllSA_lllS9_T3_llli.has_dyn_sized_stack, 0
	.set _ZL20rocblas_hbmvn_kernelILi64ELi16EPK19rocblas_complex_numIdEPKS3_PKPS1_EvbiiT1_T2_lllSA_lllS9_T3_llli.has_recursion, 0
	.set _ZL20rocblas_hbmvn_kernelILi64ELi16EPK19rocblas_complex_numIdEPKS3_PKPS1_EvbiiT1_T2_lllSA_lllS9_T3_llli.has_indirect_call, 0
	.section	.AMDGPU.csdata,"",@progbits
; Kernel info:
; codeLenInByte = 2548
; TotalNumSgprs: 43
; NumVgprs: 31
; ScratchSize: 0
; MemoryBound: 1
; FloatMode: 240
; IeeeMode: 1
; LDSByteSize: 16384 bytes/workgroup (compile time only)
; SGPRBlocks: 0
; VGPRBlocks: 3
; NumSGPRsForWavesPerEU: 43
; NumVGPRsForWavesPerEU: 31
; Occupancy: 16
; WaveLimiterHint : 1
; COMPUTE_PGM_RSRC2:SCRATCH_EN: 0
; COMPUTE_PGM_RSRC2:USER_SGPR: 6
; COMPUTE_PGM_RSRC2:TRAP_HANDLER: 0
; COMPUTE_PGM_RSRC2:TGID_X_EN: 1
; COMPUTE_PGM_RSRC2:TGID_Y_EN: 0
; COMPUTE_PGM_RSRC2:TGID_Z_EN: 1
; COMPUTE_PGM_RSRC2:TIDIG_COMP_CNT: 1
	.section	.text._ZL20rocblas_hbmvn_kernelILi64ELi16E19rocblas_complex_numIdEPKPKS1_PKPS1_EvbiiT1_T2_lllSA_lllS9_T3_llli,"axG",@progbits,_ZL20rocblas_hbmvn_kernelILi64ELi16E19rocblas_complex_numIdEPKPKS1_PKPS1_EvbiiT1_T2_lllSA_lllS9_T3_llli,comdat
	.globl	_ZL20rocblas_hbmvn_kernelILi64ELi16E19rocblas_complex_numIdEPKPKS1_PKPS1_EvbiiT1_T2_lllSA_lllS9_T3_llli ; -- Begin function _ZL20rocblas_hbmvn_kernelILi64ELi16E19rocblas_complex_numIdEPKPKS1_PKPS1_EvbiiT1_T2_lllSA_lllS9_T3_llli
	.p2align	8
	.type	_ZL20rocblas_hbmvn_kernelILi64ELi16E19rocblas_complex_numIdEPKPKS1_PKPS1_EvbiiT1_T2_lllSA_lllS9_T3_llli,@function
_ZL20rocblas_hbmvn_kernelILi64ELi16E19rocblas_complex_numIdEPKPKS1_PKPS1_EvbiiT1_T2_lllSA_lllS9_T3_llli: ; @_ZL20rocblas_hbmvn_kernelILi64ELi16E19rocblas_complex_numIdEPKPKS1_PKPS1_EvbiiT1_T2_lllSA_lllS9_T3_llli
; %bb.0:
	s_load_dwordx2 s[2:3], s[4:5], 0xa4
	s_waitcnt lgkmcnt(0)
	s_lshr_b32 s1, s2, 16
	s_and_b32 s33, s2, 0xffff
	s_and_b32 s2, s3, 0xffff
	s_mul_i32 s1, s1, s33
	s_mul_i32 s1, s1, s2
	s_cmpk_lg_i32 s1, 0x400
	s_cbranch_scc1 .LBB7_56
; %bb.1:
	s_clause 0x2
	s_load_dwordx8 s[16:23], s[4:5], 0x10
	s_load_dwordx2 s[30:31], s[4:5], 0x30
	s_load_dwordx8 s[8:15], s[4:5], 0x60
	s_mov_b32 s0, s7
	s_mov_b64 s[26:27], 0
	s_mov_b32 s2, -1
	s_waitcnt lgkmcnt(0)
	v_cmp_neq_f64_e64 s1, s[16:17], 0
	v_cmp_neq_f64_e64 s3, s[18:19], 0
	s_or_b32 s7, s1, s3
	s_mov_b32 s1, 0
	s_and_b32 vcc_lo, exec_lo, s7
	s_mov_b64 s[36:37], s[0:1]
	s_mov_b32 s3, s1
	s_cbranch_vccnz .LBB7_4
; %bb.2:
	v_cmp_eq_f64_e64 s2, s[8:9], 1.0
	v_cmp_eq_f64_e64 s3, s[10:11], 0
                                        ; implicit-def: $sgpr36_sgpr37
	s_and_b32 s3, s2, s3
	s_mov_b32 s2, 0
	s_andn2_b32 vcc_lo, exec_lo, s3
	s_mov_b32 s3, 0
	s_cbranch_vccz .LBB7_4
; %bb.3:
	s_mov_b32 s37, 0
	s_mov_b32 s36, s0
	s_mov_b32 s3, -1
.LBB7_4:
	s_and_b32 vcc_lo, exec_lo, s2
	s_cbranch_vccz .LBB7_6
; %bb.5:
	s_lshl_b64 s[0:1], s[0:1], 3
	s_add_u32 s0, s20, s0
	s_addc_u32 s1, s21, s1
	s_lshl_b64 s[2:3], s[22:23], 4
	s_load_dwordx2 s[0:1], s[0:1], 0x0
	s_waitcnt lgkmcnt(0)
	s_add_u32 s26, s0, s2
	s_addc_u32 s27, s1, s3
	s_mov_b32 s3, -1
.LBB7_6:
	s_andn2_b32 vcc_lo, exec_lo, s3
	s_cbranch_vccnz .LBB7_56
; %bb.7:
	s_clause 0x2
	s_load_dwordx2 s[24:25], s[4:5], 0x80
	s_load_dwordx4 s[0:3], s[4:5], 0x40
	s_load_dwordx2 s[28:29], s[4:5], 0x50
	s_andn2_b32 vcc_lo, exec_lo, s7
	s_mov_b64 s[34:35], 0
	s_cbranch_vccnz .LBB7_9
; %bb.8:
	s_lshl_b64 s[20:21], s[36:37], 3
	s_waitcnt lgkmcnt(0)
	s_add_u32 s0, s0, s20
	s_addc_u32 s1, s1, s21
	s_lshl_b64 s[2:3], s[2:3], 4
	s_load_dwordx2 s[0:1], s[0:1], 0x0
	s_waitcnt lgkmcnt(0)
	s_add_u32 s34, s0, s2
	s_addc_u32 s35, s1, s3
.LBB7_9:
	s_waitcnt lgkmcnt(0)
	s_lshl_b64 s[0:1], s[36:37], 3
	v_mad_u32_u24 v21, v1, s33, v0
	s_add_u32 s0, s12, s0
	s_addc_u32 s1, s13, s1
	s_load_dwordx4 s[20:23], s[4:5], 0x0
	s_load_dwordx2 s[4:5], s[0:1], 0x0
	s_andn2_b32 vcc_lo, exec_lo, s7
	s_cbranch_vccnz .LBB7_41
; %bb.10:
	v_mov_b32_e32 v2, 0
	v_mov_b32_e32 v0, 0
	v_lshrrev_b32_e32 v22, 6, v21
	v_mov_b32_e32 v3, 0
	v_mov_b32_e32 v1, 0
	s_mov_b32 s3, exec_lo
	s_waitcnt lgkmcnt(0)
	v_cmpx_gt_i32_e64 s21, v22
	s_cbranch_execz .LBB7_40
; %bb.11:
	v_and_b32_e32 v10, 63, v21
	s_lshl_b32 s2, s6, 6
	v_mad_u64_u32 v[0:1], null, s28, v22, 0
	s_bitcmp1_b32 s20, 0
	v_or_b32_e32 v4, s2, v10
	v_add3_u32 v6, s22, s2, v10
	s_cselect_b32 s0, -1, 0
	v_mad_u64_u32 v[11:12], null, s30, v22, 0
	v_ashrrev_i32_e32 v5, 31, v4
	v_mul_lo_u32 v7, s31, v4
	v_mad_u64_u32 v[2:3], null, s30, v4, 0
	v_sub_nc_u32_e32 v6, v6, v22
	v_mul_lo_u32 v9, s30, v5
	v_sub_nc_u32_e32 v8, v4, v22
	s_and_b32 s1, s0, exec_lo
	s_cselect_b32 s38, s22, 0
	s_xor_b32 s20, s0, -1
	s_cmp_eq_u32 s22, 0
	v_cndmask_b32_e64 v23, v8, v6, s0
	s_cselect_b32 s12, -1, 0
	v_add3_u32 v3, v3, v9, v7
	s_lshl_b64 s[36:37], s[30:31], 4
	s_or_b32 s33, s20, s12
	s_lshl_b64 s[12:13], s[28:29], 8
	v_cmp_gt_i32_e64 s1, s21, v4
	v_lshlrev_b64 v[2:3], 4, v[2:3]
	v_mov_b32_e32 v14, 0
	s_mov_b32 s23, 0
	v_mad_u64_u32 v[7:8], null, s29, v22, v[1:2]
	v_lshlrev_b64 v[8:9], 4, v[4:5]
	s_lshl_b64 s[28:29], s[30:31], 8
	s_add_u32 s30, s36, -16
	v_mov_b32_e32 v5, v12
	v_mad_u64_u32 v[8:9], null, v22, s30, v[8:9]
	v_mov_b32_e32 v1, v7
	v_mad_u64_u32 v[12:13], null, s31, v22, v[5:6]
	v_add_co_u32 v5, vcc_lo, s26, v2
	s_addc_u32 s30, s37, -1
	v_mov_b32_e32 v2, v9
	v_add_co_ci_u32_e64 v24, null, s27, v3, vcc_lo
	v_lshlrev_b64 v[0:1], 4, v[0:1]
	v_sub_nc_u32_e32 v7, s38, v10
	v_mad_u64_u32 v[2:3], null, v22, s30, v[2:3]
	v_lshlrev_b64 v[11:12], 4, v[11:12]
	s_mov_b64 s[30:31], 0
	v_add_co_u32 v9, vcc_lo, s34, v0
	v_add_co_ci_u32_e64 v10, null, s35, v1, vcc_lo
	v_mov_b32_e32 v26, v2
	v_mov_b32_e32 v2, 0
	;; [unrolled: 1-line block ×3, first 2 shown]
	v_subrev_nc_u32_e32 v25, s2, v7
	v_mov_b32_e32 v3, 0
	v_mov_b32_e32 v1, 0
	s_add_u32 s34, s28, 0xffffff00
	s_addc_u32 s35, s29, -1
	s_branch .LBB7_15
.LBB7_12:                               ;   in Loop: Header=BB7_15 Depth=1
	s_or_b32 exec_lo, exec_lo, s2
.LBB7_13:                               ;   in Loop: Header=BB7_15 Depth=1
	s_or_b32 exec_lo, exec_lo, s37
.LBB7_14:                               ;   in Loop: Header=BB7_15 Depth=1
	s_or_b32 exec_lo, exec_lo, s36
	v_add_nc_u32_e32 v22, 16, v22
	v_add_co_u32 v9, vcc_lo, v9, s12
	v_add_co_ci_u32_e64 v10, null, s13, v10, vcc_lo
	v_add_co_u32 v11, vcc_lo, v11, s28
	v_add_co_ci_u32_e64 v12, null, s29, v12, vcc_lo
	v_cmp_le_i32_e32 vcc_lo, s21, v22
	v_add_co_u32 v8, s2, v8, s34
	v_add_nc_u32_e32 v6, -16, v6
	v_add_co_ci_u32_e64 v26, null, s35, v26, s2
	s_add_u32 s30, s30, -16
	s_addc_u32 s31, s31, -1
	s_or_b32 s23, vcc_lo, s23
	s_andn2_b32 exec_lo, exec_lo, s23
	s_cbranch_execz .LBB7_39
.LBB7_15:                               ; =>This Inner Loop Header: Depth=1
	s_and_saveexec_b32 s36, s1
	s_cbranch_execz .LBB7_14
; %bb.16:                               ;   in Loop: Header=BB7_15 Depth=1
	v_cmp_gt_i32_e32 vcc_lo, v4, v22
	v_cndmask_b32_e64 v7, 0, 1, vcc_lo
	v_cmp_lt_i32_e32 vcc_lo, v4, v22
	v_cndmask_b32_e64 v13, 0, 1, vcc_lo
	v_cndmask_b32_e64 v7, v13, v7, s0
	v_and_b32_e32 v7, 1, v7
	v_cmp_eq_u32_e32 vcc_lo, 1, v7
	s_xor_b32 s2, vcc_lo, -1
	s_and_saveexec_b32 s37, s2
	s_xor_b32 s37, exec_lo, s37
	s_cbranch_execz .LBB7_36
; %bb.17:                               ;   in Loop: Header=BB7_15 Depth=1
	v_add_nc_u32_e32 v13, s30, v23
	v_cmp_le_i32_e32 vcc_lo, s22, v13
	v_cmp_gt_i32_e64 s2, 1, v13
	s_or_b32 s2, vcc_lo, s2
	s_and_saveexec_b32 s38, s2
	s_xor_b32 s2, exec_lo, s38
	s_cbranch_execz .LBB7_33
; %bb.18:                               ;   in Loop: Header=BB7_15 Depth=1
	s_mov_b32 s38, exec_lo
	v_cmpx_ne_u32_e32 0, v13
	s_xor_b32 s38, exec_lo, s38
	s_cbranch_execz .LBB7_26
; %bb.19:                               ;   in Loop: Header=BB7_15 Depth=1
	s_mov_b32 s39, exec_lo
	v_cmpx_eq_u32_e64 s22, v13
	s_cbranch_execz .LBB7_25
; %bb.20:                               ;   in Loop: Header=BB7_15 Depth=1
	s_and_b32 vcc_lo, exec_lo, s20
	s_mov_b32 s40, -1
                                        ; implicit-def: $vgpr17_vgpr18
                                        ; implicit-def: $vgpr15_vgpr16
	s_cbranch_vccz .LBB7_22
; %bb.21:                               ;   in Loop: Header=BB7_15 Depth=1
	v_add_co_u32 v19, vcc_lo, s26, v8
	v_add_co_ci_u32_e64 v20, null, s27, v26, vcc_lo
	s_mov_b32 s40, 0
	flat_load_dwordx4 v[15:18], v[9:10]
	flat_load_dwordx4 v[27:30], v[19:20]
	s_waitcnt vmcnt(0) lgkmcnt(0)
	v_mul_f64 v[19:20], v[17:18], v[29:30]
	v_mul_f64 v[29:30], v[15:16], v[29:30]
	v_fma_f64 v[15:16], v[15:16], v[27:28], -v[19:20]
	v_fma_f64 v[17:18], v[17:18], v[27:28], v[29:30]
	v_add_f64 v[15:16], v[0:1], v[15:16]
	v_add_f64 v[17:18], v[2:3], v[17:18]
.LBB7_22:                               ;   in Loop: Header=BB7_15 Depth=1
	s_andn2_b32 vcc_lo, exec_lo, s40
	s_cbranch_vccnz .LBB7_24
; %bb.23:                               ;   in Loop: Header=BB7_15 Depth=1
	v_ashrrev_i32_e32 v7, 31, v6
	v_lshlrev_b64 v[15:16], 4, v[6:7]
	v_add_co_u32 v7, vcc_lo, v11, v15
	v_add_co_ci_u32_e64 v13, null, v12, v16, vcc_lo
	v_add_co_u32 v19, vcc_lo, s26, v7
	v_add_co_ci_u32_e64 v20, null, s27, v13, vcc_lo
	flat_load_dwordx4 v[15:18], v[9:10]
	flat_load_dwordx2 v[19:20], v[19:20]
	s_waitcnt vmcnt(0) lgkmcnt(0)
	v_fma_f64 v[15:16], v[19:20], v[15:16], v[0:1]
	v_fma_f64 v[17:18], v[19:20], v[17:18], v[2:3]
.LBB7_24:                               ;   in Loop: Header=BB7_15 Depth=1
	v_mov_b32_e32 v2, v17
	v_mov_b32_e32 v0, v15
	v_mov_b32_e32 v3, v18
	v_mov_b32_e32 v1, v16
.LBB7_25:                               ;   in Loop: Header=BB7_15 Depth=1
	s_or_b32 exec_lo, exec_lo, s39
.LBB7_26:                               ;   in Loop: Header=BB7_15 Depth=1
	s_andn2_saveexec_b32 s38, s38
	s_cbranch_execz .LBB7_32
; %bb.27:                               ;   in Loop: Header=BB7_15 Depth=1
	v_add_co_u32 v15, vcc_lo, s26, v11
	v_add_co_ci_u32_e64 v16, null, s27, v12, vcc_lo
	s_andn2_b32 vcc_lo, exec_lo, s33
	s_mov_b32 s39, -1
                                        ; implicit-def: $vgpr19_vgpr20
                                        ; implicit-def: $vgpr17_vgpr18
	s_cbranch_vccnz .LBB7_29
; %bb.28:                               ;   in Loop: Header=BB7_15 Depth=1
	flat_load_dwordx2 v[27:28], v[15:16]
	flat_load_dwordx4 v[17:20], v[9:10]
	s_mov_b32 s39, 0
	s_waitcnt vmcnt(0) lgkmcnt(0)
	v_fma_f64 v[17:18], v[27:28], v[17:18], v[0:1]
	v_fma_f64 v[19:20], v[27:28], v[19:20], v[2:3]
.LBB7_29:                               ;   in Loop: Header=BB7_15 Depth=1
	s_andn2_b32 vcc_lo, exec_lo, s39
	s_cbranch_vccnz .LBB7_31
; %bb.30:                               ;   in Loop: Header=BB7_15 Depth=1
	flat_load_dwordx4 v[17:20], v[9:10]
	flat_load_dwordx4 v[27:30], v[15:16]
	s_waitcnt vmcnt(0) lgkmcnt(0)
	v_mul_f64 v[15:16], v[19:20], v[29:30]
	v_mul_f64 v[29:30], v[17:18], v[29:30]
	v_fma_f64 v[15:16], v[17:18], v[27:28], -v[15:16]
	v_fma_f64 v[19:20], v[19:20], v[27:28], v[29:30]
	v_add_f64 v[17:18], v[0:1], v[15:16]
	v_add_f64 v[19:20], v[2:3], v[19:20]
.LBB7_31:                               ;   in Loop: Header=BB7_15 Depth=1
	v_mov_b32_e32 v2, v19
	v_mov_b32_e32 v0, v17
	;; [unrolled: 1-line block ×4, first 2 shown]
.LBB7_32:                               ;   in Loop: Header=BB7_15 Depth=1
	s_or_b32 exec_lo, exec_lo, s38
.LBB7_33:                               ;   in Loop: Header=BB7_15 Depth=1
	s_andn2_saveexec_b32 s2, s2
	s_cbranch_execz .LBB7_35
; %bb.34:                               ;   in Loop: Header=BB7_15 Depth=1
	v_lshlrev_b64 v[15:16], 4, v[13:14]
	v_add_co_u32 v7, vcc_lo, v11, v15
	v_add_co_ci_u32_e64 v13, null, v12, v16, vcc_lo
	v_add_co_u32 v19, vcc_lo, s26, v7
	v_add_co_ci_u32_e64 v20, null, s27, v13, vcc_lo
	flat_load_dwordx4 v[15:18], v[9:10]
	flat_load_dwordx4 v[27:30], v[19:20]
	s_waitcnt vmcnt(0) lgkmcnt(0)
	v_mul_f64 v[19:20], v[17:18], v[29:30]
	v_mul_f64 v[29:30], v[15:16], v[29:30]
	v_fma_f64 v[15:16], v[15:16], v[27:28], -v[19:20]
	v_fma_f64 v[17:18], v[17:18], v[27:28], v[29:30]
	v_add_f64 v[0:1], v[0:1], v[15:16]
	v_add_f64 v[2:3], v[2:3], v[17:18]
.LBB7_35:                               ;   in Loop: Header=BB7_15 Depth=1
	s_or_b32 exec_lo, exec_lo, s2
.LBB7_36:                               ;   in Loop: Header=BB7_15 Depth=1
	s_andn2_saveexec_b32 s37, s37
	s_cbranch_execz .LBB7_13
; %bb.37:                               ;   in Loop: Header=BB7_15 Depth=1
	v_add_nc_u32_e32 v13, v25, v22
	v_cmp_ge_i32_e32 vcc_lo, s22, v13
	v_cmp_lt_i32_e64 s2, -1, v13
	s_and_b32 s38, vcc_lo, s2
	s_and_saveexec_b32 s2, s38
	s_cbranch_execz .LBB7_12
; %bb.38:                               ;   in Loop: Header=BB7_15 Depth=1
	v_lshlrev_b64 v[15:16], 4, v[13:14]
	v_add_co_u32 v19, vcc_lo, v5, v15
	v_add_co_ci_u32_e64 v20, null, v24, v16, vcc_lo
	flat_load_dwordx4 v[15:18], v[9:10]
	flat_load_dwordx4 v[27:30], v[19:20]
	s_waitcnt vmcnt(0) lgkmcnt(0)
	v_mul_f64 v[19:20], v[29:30], v[17:18]
	v_mul_f64 v[29:30], v[29:30], v[15:16]
	v_fma_f64 v[15:16], v[27:28], v[15:16], v[19:20]
	v_fma_f64 v[17:18], v[27:28], v[17:18], -v[29:30]
	v_add_f64 v[0:1], v[0:1], v[15:16]
	v_add_f64 v[2:3], v[2:3], v[17:18]
	s_branch .LBB7_12
.LBB7_39:
	s_or_b32 exec_lo, exec_lo, s23
.LBB7_40:
	s_or_b32 exec_lo, exec_lo, s3
	v_lshlrev_b32_e32 v4, 4, v21
	ds_write_b128 v4, v[0:3]
	s_waitcnt lgkmcnt(0)
	s_barrier
	buffer_gl0_inv
.LBB7_41:
	s_mov_b32 s0, exec_lo
	v_cmpx_gt_u32_e32 64, v21
	s_cbranch_execz .LBB7_56
; %bb.42:
	v_lshl_or_b32 v10, s6, 6, v21
	s_lshl_b64 s[2:3], s[14:15], 4
	s_xor_b32 s0, s7, -1
	s_waitcnt lgkmcnt(0)
	s_add_u32 s1, s4, s2
	s_addc_u32 s2, s5, s3
	s_and_b32 vcc_lo, exec_lo, s0
	v_cmp_gt_i32_e64 s0, s21, v10
	s_cbranch_vccz .LBB7_48
; %bb.43:
	s_mov_b32 s4, 0
	s_mov_b32 s3, 0
                                        ; implicit-def: $vgpr2_vgpr3
                                        ; implicit-def: $vgpr8_vgpr9
	s_and_saveexec_b32 s5, s0
	s_xor_b32 s0, exec_lo, s5
	s_cbranch_execz .LBB7_47
; %bb.44:
	v_cmp_neq_f64_e64 s3, s[8:9], 0
	v_cmp_neq_f64_e64 s5, s[10:11], 0
	v_ashrrev_i32_e32 v0, 31, v10
	v_mul_lo_u32 v4, s25, v10
	v_mad_u64_u32 v[8:9], null, s24, v10, 0
	v_mov_b32_e32 v2, 0
	v_mul_lo_u32 v5, s24, v0
	v_mov_b32_e32 v0, 0
	v_mov_b32_e32 v3, 0
	;; [unrolled: 1-line block ×3, first 2 shown]
	v_add3_u32 v9, v9, v5, v4
	s_or_b32 s3, s3, s5
	s_andn2_b32 vcc_lo, exec_lo, s3
	s_cbranch_vccnz .LBB7_46
; %bb.45:
	v_lshlrev_b64 v[0:1], 4, v[8:9]
	v_add_co_u32 v0, vcc_lo, s1, v0
	v_add_co_ci_u32_e64 v1, null, s2, v1, vcc_lo
	flat_load_dwordx4 v[2:5], v[0:1]
	s_waitcnt vmcnt(0) lgkmcnt(0)
	v_mul_f64 v[0:1], s[10:11], v[4:5]
	v_mul_f64 v[4:5], s[8:9], v[4:5]
	v_fma_f64 v[0:1], s[8:9], v[2:3], -v[0:1]
	v_fma_f64 v[2:3], s[10:11], v[2:3], v[4:5]
.LBB7_46:
	s_mov_b32 s3, exec_lo
.LBB7_47:
	s_or_b32 exec_lo, exec_lo, s0
	s_and_b32 vcc_lo, exec_lo, s4
	s_cbranch_vccnz .LBB7_49
	s_branch .LBB7_54
.LBB7_48:
	s_mov_b32 s3, 0
                                        ; implicit-def: $vgpr2_vgpr3
                                        ; implicit-def: $vgpr8_vgpr9
	s_cbranch_execz .LBB7_54
.LBB7_49:
	v_lshlrev_b32_e32 v13, 4, v21
	s_mov_b32 s0, exec_lo
	ds_read_b128 v[0:3], v13
	ds_read_b128 v[4:7], v13 offset:1024
	s_waitcnt lgkmcnt(0)
	v_add_f64 v[8:9], v[0:1], v[4:5]
	v_add_f64 v[11:12], v[2:3], v[6:7]
	ds_read_b128 v[0:3], v13 offset:2048
	ds_read_b128 v[4:7], v13 offset:3072
	s_waitcnt lgkmcnt(1)
	v_add_f64 v[0:1], v[8:9], v[0:1]
	v_add_f64 v[2:3], v[11:12], v[2:3]
	s_waitcnt lgkmcnt(0)
	v_add_f64 v[8:9], v[0:1], v[4:5]
	v_add_f64 v[11:12], v[2:3], v[6:7]
	ds_read_b128 v[0:3], v13 offset:4096
	ds_read_b128 v[4:7], v13 offset:5120
	s_waitcnt lgkmcnt(1)
	v_add_f64 v[0:1], v[8:9], v[0:1]
	v_add_f64 v[2:3], v[11:12], v[2:3]
	;; [unrolled: 8-line block ×7, first 2 shown]
                                        ; implicit-def: $vgpr8_vgpr9
	s_waitcnt lgkmcnt(0)
	v_add_f64 v[4:5], v[0:1], v[4:5]
	v_add_f64 v[6:7], v[2:3], v[6:7]
                                        ; implicit-def: $vgpr2_vgpr3
	ds_write_b128 v13, v[4:7]
	v_cmpx_gt_i32_e64 s21, v10
	s_cbranch_execz .LBB7_53
; %bb.50:
	v_mul_f64 v[0:1], s[18:19], v[6:7]
	v_mul_f64 v[2:3], s[16:17], v[6:7]
	v_cmp_neq_f64_e64 s4, s[8:9], 0
	v_cmp_neq_f64_e64 s5, s[10:11], 0
	v_mad_u64_u32 v[8:9], null, s24, v10, 0
	v_fma_f64 v[0:1], s[16:17], v[4:5], -v[0:1]
	v_fma_f64 v[2:3], s[18:19], v[4:5], v[2:3]
	v_ashrrev_i32_e32 v4, 31, v10
	v_mul_lo_u32 v5, s25, v10
	s_or_b32 s4, s4, s5
	s_andn2_b32 vcc_lo, exec_lo, s4
	v_mul_lo_u32 v4, s24, v4
	v_add3_u32 v9, v9, v4, v5
	s_cbranch_vccnz .LBB7_52
; %bb.51:
	v_lshlrev_b64 v[4:5], 4, v[8:9]
	v_add_co_u32 v4, vcc_lo, s1, v4
	v_add_co_ci_u32_e64 v5, null, s2, v5, vcc_lo
	flat_load_dwordx4 v[4:7], v[4:5]
	s_waitcnt vmcnt(0) lgkmcnt(0)
	v_mul_f64 v[10:11], s[10:11], v[6:7]
	v_mul_f64 v[6:7], s[8:9], v[6:7]
	v_fma_f64 v[10:11], s[8:9], v[4:5], -v[10:11]
	v_fma_f64 v[4:5], s[10:11], v[4:5], v[6:7]
	v_add_f64 v[0:1], v[0:1], v[10:11]
	v_add_f64 v[2:3], v[2:3], v[4:5]
.LBB7_52:
	s_or_b32 s3, s3, exec_lo
.LBB7_53:
	s_or_b32 exec_lo, exec_lo, s0
.LBB7_54:
	s_and_b32 exec_lo, exec_lo, s3
	s_cbranch_execz .LBB7_56
; %bb.55:
	v_lshlrev_b64 v[4:5], 4, v[8:9]
	v_add_co_u32 v4, vcc_lo, s1, v4
	v_add_co_ci_u32_e64 v5, null, s2, v5, vcc_lo
	flat_store_dwordx4 v[4:5], v[0:3]
.LBB7_56:
	s_endpgm
	.section	.rodata,"a",@progbits
	.p2align	6, 0x0
	.amdhsa_kernel _ZL20rocblas_hbmvn_kernelILi64ELi16E19rocblas_complex_numIdEPKPKS1_PKPS1_EvbiiT1_T2_lllSA_lllS9_T3_llli
		.amdhsa_group_segment_fixed_size 16384
		.amdhsa_private_segment_fixed_size 0
		.amdhsa_kernarg_size 408
		.amdhsa_user_sgpr_count 6
		.amdhsa_user_sgpr_private_segment_buffer 1
		.amdhsa_user_sgpr_dispatch_ptr 0
		.amdhsa_user_sgpr_queue_ptr 0
		.amdhsa_user_sgpr_kernarg_segment_ptr 1
		.amdhsa_user_sgpr_dispatch_id 0
		.amdhsa_user_sgpr_flat_scratch_init 0
		.amdhsa_user_sgpr_private_segment_size 0
		.amdhsa_wavefront_size32 1
		.amdhsa_uses_dynamic_stack 0
		.amdhsa_system_sgpr_private_segment_wavefront_offset 0
		.amdhsa_system_sgpr_workgroup_id_x 1
		.amdhsa_system_sgpr_workgroup_id_y 0
		.amdhsa_system_sgpr_workgroup_id_z 1
		.amdhsa_system_sgpr_workgroup_info 0
		.amdhsa_system_vgpr_workitem_id 1
		.amdhsa_next_free_vgpr 31
		.amdhsa_next_free_sgpr 41
		.amdhsa_reserve_vcc 1
		.amdhsa_reserve_flat_scratch 0
		.amdhsa_float_round_mode_32 0
		.amdhsa_float_round_mode_16_64 0
		.amdhsa_float_denorm_mode_32 3
		.amdhsa_float_denorm_mode_16_64 3
		.amdhsa_dx10_clamp 1
		.amdhsa_ieee_mode 1
		.amdhsa_fp16_overflow 0
		.amdhsa_workgroup_processor_mode 1
		.amdhsa_memory_ordered 1
		.amdhsa_forward_progress 1
		.amdhsa_shared_vgpr_count 0
		.amdhsa_exception_fp_ieee_invalid_op 0
		.amdhsa_exception_fp_denorm_src 0
		.amdhsa_exception_fp_ieee_div_zero 0
		.amdhsa_exception_fp_ieee_overflow 0
		.amdhsa_exception_fp_ieee_underflow 0
		.amdhsa_exception_fp_ieee_inexact 0
		.amdhsa_exception_int_div_zero 0
	.end_amdhsa_kernel
	.section	.text._ZL20rocblas_hbmvn_kernelILi64ELi16E19rocblas_complex_numIdEPKPKS1_PKPS1_EvbiiT1_T2_lllSA_lllS9_T3_llli,"axG",@progbits,_ZL20rocblas_hbmvn_kernelILi64ELi16E19rocblas_complex_numIdEPKPKS1_PKPS1_EvbiiT1_T2_lllSA_lllS9_T3_llli,comdat
.Lfunc_end7:
	.size	_ZL20rocblas_hbmvn_kernelILi64ELi16E19rocblas_complex_numIdEPKPKS1_PKPS1_EvbiiT1_T2_lllSA_lllS9_T3_llli, .Lfunc_end7-_ZL20rocblas_hbmvn_kernelILi64ELi16E19rocblas_complex_numIdEPKPKS1_PKPS1_EvbiiT1_T2_lllSA_lllS9_T3_llli
                                        ; -- End function
	.set _ZL20rocblas_hbmvn_kernelILi64ELi16E19rocblas_complex_numIdEPKPKS1_PKPS1_EvbiiT1_T2_lllSA_lllS9_T3_llli.num_vgpr, 31
	.set _ZL20rocblas_hbmvn_kernelILi64ELi16E19rocblas_complex_numIdEPKPKS1_PKPS1_EvbiiT1_T2_lllSA_lllS9_T3_llli.num_agpr, 0
	.set _ZL20rocblas_hbmvn_kernelILi64ELi16E19rocblas_complex_numIdEPKPKS1_PKPS1_EvbiiT1_T2_lllSA_lllS9_T3_llli.numbered_sgpr, 41
	.set _ZL20rocblas_hbmvn_kernelILi64ELi16E19rocblas_complex_numIdEPKPKS1_PKPS1_EvbiiT1_T2_lllSA_lllS9_T3_llli.num_named_barrier, 0
	.set _ZL20rocblas_hbmvn_kernelILi64ELi16E19rocblas_complex_numIdEPKPKS1_PKPS1_EvbiiT1_T2_lllSA_lllS9_T3_llli.private_seg_size, 0
	.set _ZL20rocblas_hbmvn_kernelILi64ELi16E19rocblas_complex_numIdEPKPKS1_PKPS1_EvbiiT1_T2_lllSA_lllS9_T3_llli.uses_vcc, 1
	.set _ZL20rocblas_hbmvn_kernelILi64ELi16E19rocblas_complex_numIdEPKPKS1_PKPS1_EvbiiT1_T2_lllSA_lllS9_T3_llli.uses_flat_scratch, 0
	.set _ZL20rocblas_hbmvn_kernelILi64ELi16E19rocblas_complex_numIdEPKPKS1_PKPS1_EvbiiT1_T2_lllSA_lllS9_T3_llli.has_dyn_sized_stack, 0
	.set _ZL20rocblas_hbmvn_kernelILi64ELi16E19rocblas_complex_numIdEPKPKS1_PKPS1_EvbiiT1_T2_lllSA_lllS9_T3_llli.has_recursion, 0
	.set _ZL20rocblas_hbmvn_kernelILi64ELi16E19rocblas_complex_numIdEPKPKS1_PKPS1_EvbiiT1_T2_lllSA_lllS9_T3_llli.has_indirect_call, 0
	.section	.AMDGPU.csdata,"",@progbits
; Kernel info:
; codeLenInByte = 2544
; TotalNumSgprs: 43
; NumVgprs: 31
; ScratchSize: 0
; MemoryBound: 1
; FloatMode: 240
; IeeeMode: 1
; LDSByteSize: 16384 bytes/workgroup (compile time only)
; SGPRBlocks: 0
; VGPRBlocks: 3
; NumSGPRsForWavesPerEU: 43
; NumVGPRsForWavesPerEU: 31
; Occupancy: 16
; WaveLimiterHint : 1
; COMPUTE_PGM_RSRC2:SCRATCH_EN: 0
; COMPUTE_PGM_RSRC2:USER_SGPR: 6
; COMPUTE_PGM_RSRC2:TRAP_HANDLER: 0
; COMPUTE_PGM_RSRC2:TGID_X_EN: 1
; COMPUTE_PGM_RSRC2:TGID_Y_EN: 0
; COMPUTE_PGM_RSRC2:TGID_Z_EN: 1
; COMPUTE_PGM_RSRC2:TIDIG_COMP_CNT: 1
	.section	.AMDGPU.gpr_maximums,"",@progbits
	.set amdgpu.max_num_vgpr, 0
	.set amdgpu.max_num_agpr, 0
	.set amdgpu.max_num_sgpr, 0
	.section	.AMDGPU.csdata,"",@progbits
	.type	__hip_cuid_8437368438117542,@object ; @__hip_cuid_8437368438117542
	.section	.bss,"aw",@nobits
	.globl	__hip_cuid_8437368438117542
__hip_cuid_8437368438117542:
	.byte	0                               ; 0x0
	.size	__hip_cuid_8437368438117542, 1

	.ident	"AMD clang version 22.0.0git (https://github.com/RadeonOpenCompute/llvm-project roc-7.2.4 26084 f58b06dce1f9c15707c5f808fd002e18c2accf7e)"
	.section	".note.GNU-stack","",@progbits
	.addrsig
	.addrsig_sym __hip_cuid_8437368438117542
	.amdgpu_metadata
---
amdhsa.kernels:
  - .args:
      - .offset:         0
        .size:           1
        .value_kind:     by_value
      - .offset:         4
        .size:           4
        .value_kind:     by_value
      - .offset:         8
        .size:           4
        .value_kind:     by_value
      - .address_space:  global
        .offset:         16
        .size:           8
        .value_kind:     global_buffer
      - .address_space:  global
        .offset:         24
        .size:           8
        .value_kind:     global_buffer
      - .offset:         32
        .size:           8
        .value_kind:     by_value
      - .offset:         40
        .size:           8
        .value_kind:     by_value
      - .offset:         48
        .size:           8
        .value_kind:     by_value
      - .address_space:  global
        .offset:         56
        .size:           8
        .value_kind:     global_buffer
      - .offset:         64
        .size:           8
        .value_kind:     by_value
      - .offset:         72
        .size:           8
        .value_kind:     by_value
      - .offset:         80
        .size:           8
        .value_kind:     by_value
      - .address_space:  global
        .offset:         88
        .size:           8
        .value_kind:     global_buffer
      - .address_space:  global
        .offset:         96
        .size:           8
        .value_kind:     global_buffer
      - .offset:         104
        .size:           8
        .value_kind:     by_value
      - .offset:         112
        .size:           8
        .value_kind:     by_value
      - .offset:         120
        .size:           8
        .value_kind:     by_value
      - .offset:         128
        .size:           4
        .value_kind:     by_value
      - .offset:         136
        .size:           4
        .value_kind:     hidden_block_count_x
      - .offset:         140
        .size:           4
        .value_kind:     hidden_block_count_y
      - .offset:         144
        .size:           4
        .value_kind:     hidden_block_count_z
      - .offset:         148
        .size:           2
        .value_kind:     hidden_group_size_x
      - .offset:         150
        .size:           2
        .value_kind:     hidden_group_size_y
      - .offset:         152
        .size:           2
        .value_kind:     hidden_group_size_z
      - .offset:         154
        .size:           2
        .value_kind:     hidden_remainder_x
      - .offset:         156
        .size:           2
        .value_kind:     hidden_remainder_y
      - .offset:         158
        .size:           2
        .value_kind:     hidden_remainder_z
      - .offset:         176
        .size:           8
        .value_kind:     hidden_global_offset_x
      - .offset:         184
        .size:           8
        .value_kind:     hidden_global_offset_y
      - .offset:         192
        .size:           8
        .value_kind:     hidden_global_offset_z
      - .offset:         200
        .size:           2
        .value_kind:     hidden_grid_dims
    .group_segment_fixed_size: 8192
    .kernarg_segment_align: 8
    .kernarg_segment_size: 392
    .language:       OpenCL C
    .language_version:
      - 2
      - 0
    .max_flat_workgroup_size: 1024
    .name:           _ZL20rocblas_hbmvn_kernelILi64ELi16EPK19rocblas_complex_numIfES3_PS1_EvbiiT1_T2_lllS6_lllS5_T3_llli
    .private_segment_fixed_size: 0
    .sgpr_count:     47
    .sgpr_spill_count: 0
    .symbol:         _ZL20rocblas_hbmvn_kernelILi64ELi16EPK19rocblas_complex_numIfES3_PS1_EvbiiT1_T2_lllS6_lllS5_T3_llli.kd
    .uniform_work_group_size: 1
    .uses_dynamic_stack: false
    .vgpr_count:     23
    .vgpr_spill_count: 0
    .wavefront_size: 32
    .workgroup_processor_mode: 1
  - .args:
      - .offset:         0
        .size:           1
        .value_kind:     by_value
      - .offset:         4
        .size:           4
        .value_kind:     by_value
      - .offset:         8
        .size:           4
        .value_kind:     by_value
      - .offset:         12
        .size:           8
        .value_kind:     by_value
      - .address_space:  global
        .offset:         24
        .size:           8
        .value_kind:     global_buffer
      - .offset:         32
        .size:           8
        .value_kind:     by_value
      - .offset:         40
        .size:           8
        .value_kind:     by_value
      - .offset:         48
        .size:           8
        .value_kind:     by_value
      - .address_space:  global
        .offset:         56
        .size:           8
        .value_kind:     global_buffer
      - .offset:         64
        .size:           8
        .value_kind:     by_value
      - .offset:         72
        .size:           8
        .value_kind:     by_value
      - .offset:         80
        .size:           8
        .value_kind:     by_value
      - .offset:         88
        .size:           8
        .value_kind:     by_value
      - .address_space:  global
        .offset:         96
        .size:           8
        .value_kind:     global_buffer
      - .offset:         104
        .size:           8
        .value_kind:     by_value
      - .offset:         112
        .size:           8
        .value_kind:     by_value
      - .offset:         120
        .size:           8
        .value_kind:     by_value
      - .offset:         128
        .size:           4
        .value_kind:     by_value
      - .offset:         136
        .size:           4
        .value_kind:     hidden_block_count_x
      - .offset:         140
        .size:           4
        .value_kind:     hidden_block_count_y
      - .offset:         144
        .size:           4
        .value_kind:     hidden_block_count_z
      - .offset:         148
        .size:           2
        .value_kind:     hidden_group_size_x
      - .offset:         150
        .size:           2
        .value_kind:     hidden_group_size_y
      - .offset:         152
        .size:           2
        .value_kind:     hidden_group_size_z
      - .offset:         154
        .size:           2
        .value_kind:     hidden_remainder_x
      - .offset:         156
        .size:           2
        .value_kind:     hidden_remainder_y
      - .offset:         158
        .size:           2
        .value_kind:     hidden_remainder_z
      - .offset:         176
        .size:           8
        .value_kind:     hidden_global_offset_x
      - .offset:         184
        .size:           8
        .value_kind:     hidden_global_offset_y
      - .offset:         192
        .size:           8
        .value_kind:     hidden_global_offset_z
      - .offset:         200
        .size:           2
        .value_kind:     hidden_grid_dims
    .group_segment_fixed_size: 8192
    .kernarg_segment_align: 8
    .kernarg_segment_size: 392
    .language:       OpenCL C
    .language_version:
      - 2
      - 0
    .max_flat_workgroup_size: 1024
    .name:           _ZL20rocblas_hbmvn_kernelILi64ELi16E19rocblas_complex_numIfEPKS1_PS1_EvbiiT1_T2_lllS6_lllS5_T3_llli
    .private_segment_fixed_size: 0
    .sgpr_count:     42
    .sgpr_spill_count: 0
    .symbol:         _ZL20rocblas_hbmvn_kernelILi64ELi16E19rocblas_complex_numIfEPKS1_PS1_EvbiiT1_T2_lllS6_lllS5_T3_llli.kd
    .uniform_work_group_size: 1
    .uses_dynamic_stack: false
    .vgpr_count:     23
    .vgpr_spill_count: 0
    .wavefront_size: 32
    .workgroup_processor_mode: 1
  - .args:
      - .offset:         0
        .size:           1
        .value_kind:     by_value
      - .offset:         4
        .size:           4
        .value_kind:     by_value
      - .offset:         8
        .size:           4
        .value_kind:     by_value
      - .address_space:  global
        .offset:         16
        .size:           8
        .value_kind:     global_buffer
      - .address_space:  global
        .offset:         24
        .size:           8
        .value_kind:     global_buffer
      - .offset:         32
        .size:           8
        .value_kind:     by_value
      - .offset:         40
        .size:           8
        .value_kind:     by_value
      - .offset:         48
        .size:           8
        .value_kind:     by_value
      - .address_space:  global
        .offset:         56
        .size:           8
        .value_kind:     global_buffer
      - .offset:         64
        .size:           8
        .value_kind:     by_value
      - .offset:         72
        .size:           8
        .value_kind:     by_value
      - .offset:         80
        .size:           8
        .value_kind:     by_value
      - .address_space:  global
        .offset:         88
        .size:           8
        .value_kind:     global_buffer
      - .address_space:  global
        .offset:         96
        .size:           8
        .value_kind:     global_buffer
      - .offset:         104
        .size:           8
        .value_kind:     by_value
      - .offset:         112
        .size:           8
        .value_kind:     by_value
      - .offset:         120
        .size:           8
        .value_kind:     by_value
      - .offset:         128
        .size:           4
        .value_kind:     by_value
      - .offset:         136
        .size:           4
        .value_kind:     hidden_block_count_x
      - .offset:         140
        .size:           4
        .value_kind:     hidden_block_count_y
      - .offset:         144
        .size:           4
        .value_kind:     hidden_block_count_z
      - .offset:         148
        .size:           2
        .value_kind:     hidden_group_size_x
      - .offset:         150
        .size:           2
        .value_kind:     hidden_group_size_y
      - .offset:         152
        .size:           2
        .value_kind:     hidden_group_size_z
      - .offset:         154
        .size:           2
        .value_kind:     hidden_remainder_x
      - .offset:         156
        .size:           2
        .value_kind:     hidden_remainder_y
      - .offset:         158
        .size:           2
        .value_kind:     hidden_remainder_z
      - .offset:         176
        .size:           8
        .value_kind:     hidden_global_offset_x
      - .offset:         184
        .size:           8
        .value_kind:     hidden_global_offset_y
      - .offset:         192
        .size:           8
        .value_kind:     hidden_global_offset_z
      - .offset:         200
        .size:           2
        .value_kind:     hidden_grid_dims
    .group_segment_fixed_size: 16384
    .kernarg_segment_align: 8
    .kernarg_segment_size: 392
    .language:       OpenCL C
    .language_version:
      - 2
      - 0
    .max_flat_workgroup_size: 1024
    .name:           _ZL20rocblas_hbmvn_kernelILi64ELi16EPK19rocblas_complex_numIdES3_PS1_EvbiiT1_T2_lllS6_lllS5_T3_llli
    .private_segment_fixed_size: 0
    .sgpr_count:     56
    .sgpr_spill_count: 0
    .symbol:         _ZL20rocblas_hbmvn_kernelILi64ELi16EPK19rocblas_complex_numIdES3_PS1_EvbiiT1_T2_lllS6_lllS5_T3_llli.kd
    .uniform_work_group_size: 1
    .uses_dynamic_stack: false
    .vgpr_count:     33
    .vgpr_spill_count: 0
    .wavefront_size: 32
    .workgroup_processor_mode: 1
  - .args:
      - .offset:         0
        .size:           1
        .value_kind:     by_value
      - .offset:         4
        .size:           4
        .value_kind:     by_value
      - .offset:         8
        .size:           4
        .value_kind:     by_value
      - .offset:         16
        .size:           16
        .value_kind:     by_value
      - .address_space:  global
        .offset:         32
        .size:           8
        .value_kind:     global_buffer
      - .offset:         40
        .size:           8
        .value_kind:     by_value
      - .offset:         48
        .size:           8
        .value_kind:     by_value
      - .offset:         56
        .size:           8
        .value_kind:     by_value
      - .address_space:  global
        .offset:         64
        .size:           8
        .value_kind:     global_buffer
      - .offset:         72
        .size:           8
        .value_kind:     by_value
      - .offset:         80
        .size:           8
        .value_kind:     by_value
      - .offset:         88
        .size:           8
        .value_kind:     by_value
      - .offset:         96
        .size:           16
        .value_kind:     by_value
      - .address_space:  global
        .offset:         112
        .size:           8
        .value_kind:     global_buffer
      - .offset:         120
        .size:           8
        .value_kind:     by_value
      - .offset:         128
        .size:           8
        .value_kind:     by_value
      - .offset:         136
        .size:           8
        .value_kind:     by_value
      - .offset:         144
        .size:           4
        .value_kind:     by_value
      - .offset:         152
        .size:           4
        .value_kind:     hidden_block_count_x
      - .offset:         156
        .size:           4
        .value_kind:     hidden_block_count_y
      - .offset:         160
        .size:           4
        .value_kind:     hidden_block_count_z
      - .offset:         164
        .size:           2
        .value_kind:     hidden_group_size_x
      - .offset:         166
        .size:           2
        .value_kind:     hidden_group_size_y
      - .offset:         168
        .size:           2
        .value_kind:     hidden_group_size_z
      - .offset:         170
        .size:           2
        .value_kind:     hidden_remainder_x
      - .offset:         172
        .size:           2
        .value_kind:     hidden_remainder_y
      - .offset:         174
        .size:           2
        .value_kind:     hidden_remainder_z
      - .offset:         192
        .size:           8
        .value_kind:     hidden_global_offset_x
      - .offset:         200
        .size:           8
        .value_kind:     hidden_global_offset_y
      - .offset:         208
        .size:           8
        .value_kind:     hidden_global_offset_z
      - .offset:         216
        .size:           2
        .value_kind:     hidden_grid_dims
    .group_segment_fixed_size: 16384
    .kernarg_segment_align: 8
    .kernarg_segment_size: 408
    .language:       OpenCL C
    .language_version:
      - 2
      - 0
    .max_flat_workgroup_size: 1024
    .name:           _ZL20rocblas_hbmvn_kernelILi64ELi16E19rocblas_complex_numIdEPKS1_PS1_EvbiiT1_T2_lllS6_lllS5_T3_llli
    .private_segment_fixed_size: 0
    .sgpr_count:     54
    .sgpr_spill_count: 0
    .symbol:         _ZL20rocblas_hbmvn_kernelILi64ELi16E19rocblas_complex_numIdEPKS1_PS1_EvbiiT1_T2_lllS6_lllS5_T3_llli.kd
    .uniform_work_group_size: 1
    .uses_dynamic_stack: false
    .vgpr_count:     33
    .vgpr_spill_count: 0
    .wavefront_size: 32
    .workgroup_processor_mode: 1
  - .args:
      - .offset:         0
        .size:           1
        .value_kind:     by_value
      - .offset:         4
        .size:           4
        .value_kind:     by_value
      - .offset:         8
        .size:           4
        .value_kind:     by_value
      - .address_space:  global
        .offset:         16
        .size:           8
        .value_kind:     global_buffer
      - .address_space:  global
        .offset:         24
        .size:           8
        .value_kind:     global_buffer
      - .offset:         32
        .size:           8
        .value_kind:     by_value
      - .offset:         40
        .size:           8
        .value_kind:     by_value
      - .offset:         48
        .size:           8
        .value_kind:     by_value
      - .address_space:  global
        .offset:         56
        .size:           8
        .value_kind:     global_buffer
      - .offset:         64
        .size:           8
        .value_kind:     by_value
      - .offset:         72
        .size:           8
        .value_kind:     by_value
      - .offset:         80
        .size:           8
        .value_kind:     by_value
      - .address_space:  global
        .offset:         88
        .size:           8
        .value_kind:     global_buffer
      - .address_space:  global
        .offset:         96
        .size:           8
        .value_kind:     global_buffer
      - .offset:         104
        .size:           8
        .value_kind:     by_value
      - .offset:         112
        .size:           8
        .value_kind:     by_value
      - .offset:         120
        .size:           8
        .value_kind:     by_value
      - .offset:         128
        .size:           4
        .value_kind:     by_value
      - .offset:         136
        .size:           4
        .value_kind:     hidden_block_count_x
      - .offset:         140
        .size:           4
        .value_kind:     hidden_block_count_y
      - .offset:         144
        .size:           4
        .value_kind:     hidden_block_count_z
      - .offset:         148
        .size:           2
        .value_kind:     hidden_group_size_x
      - .offset:         150
        .size:           2
        .value_kind:     hidden_group_size_y
      - .offset:         152
        .size:           2
        .value_kind:     hidden_group_size_z
      - .offset:         154
        .size:           2
        .value_kind:     hidden_remainder_x
      - .offset:         156
        .size:           2
        .value_kind:     hidden_remainder_y
      - .offset:         158
        .size:           2
        .value_kind:     hidden_remainder_z
      - .offset:         176
        .size:           8
        .value_kind:     hidden_global_offset_x
      - .offset:         184
        .size:           8
        .value_kind:     hidden_global_offset_y
      - .offset:         192
        .size:           8
        .value_kind:     hidden_global_offset_z
      - .offset:         200
        .size:           2
        .value_kind:     hidden_grid_dims
    .group_segment_fixed_size: 8192
    .kernarg_segment_align: 8
    .kernarg_segment_size: 392
    .language:       OpenCL C
    .language_version:
      - 2
      - 0
    .max_flat_workgroup_size: 1024
    .name:           _ZL20rocblas_hbmvn_kernelILi64ELi16EPK19rocblas_complex_numIfEPKS3_PKPS1_EvbiiT1_T2_lllSA_lllS9_T3_llli
    .private_segment_fixed_size: 0
    .sgpr_count:     39
    .sgpr_spill_count: 0
    .symbol:         _ZL20rocblas_hbmvn_kernelILi64ELi16EPK19rocblas_complex_numIfEPKS3_PKPS1_EvbiiT1_T2_lllSA_lllS9_T3_llli.kd
    .uniform_work_group_size: 1
    .uses_dynamic_stack: false
    .vgpr_count:     23
    .vgpr_spill_count: 0
    .wavefront_size: 32
    .workgroup_processor_mode: 1
  - .args:
      - .offset:         0
        .size:           1
        .value_kind:     by_value
      - .offset:         4
        .size:           4
        .value_kind:     by_value
      - .offset:         8
        .size:           4
        .value_kind:     by_value
      - .offset:         12
        .size:           8
        .value_kind:     by_value
      - .address_space:  global
        .offset:         24
        .size:           8
        .value_kind:     global_buffer
      - .offset:         32
        .size:           8
        .value_kind:     by_value
      - .offset:         40
        .size:           8
        .value_kind:     by_value
      - .offset:         48
        .size:           8
        .value_kind:     by_value
      - .address_space:  global
        .offset:         56
        .size:           8
        .value_kind:     global_buffer
      - .offset:         64
        .size:           8
        .value_kind:     by_value
      - .offset:         72
        .size:           8
        .value_kind:     by_value
      - .offset:         80
        .size:           8
        .value_kind:     by_value
      - .offset:         88
        .size:           8
        .value_kind:     by_value
      - .address_space:  global
        .offset:         96
        .size:           8
        .value_kind:     global_buffer
      - .offset:         104
        .size:           8
        .value_kind:     by_value
      - .offset:         112
        .size:           8
        .value_kind:     by_value
      - .offset:         120
        .size:           8
        .value_kind:     by_value
      - .offset:         128
        .size:           4
        .value_kind:     by_value
      - .offset:         136
        .size:           4
        .value_kind:     hidden_block_count_x
      - .offset:         140
        .size:           4
        .value_kind:     hidden_block_count_y
      - .offset:         144
        .size:           4
        .value_kind:     hidden_block_count_z
      - .offset:         148
        .size:           2
        .value_kind:     hidden_group_size_x
      - .offset:         150
        .size:           2
        .value_kind:     hidden_group_size_y
      - .offset:         152
        .size:           2
        .value_kind:     hidden_group_size_z
      - .offset:         154
        .size:           2
        .value_kind:     hidden_remainder_x
      - .offset:         156
        .size:           2
        .value_kind:     hidden_remainder_y
      - .offset:         158
        .size:           2
        .value_kind:     hidden_remainder_z
      - .offset:         176
        .size:           8
        .value_kind:     hidden_global_offset_x
      - .offset:         184
        .size:           8
        .value_kind:     hidden_global_offset_y
      - .offset:         192
        .size:           8
        .value_kind:     hidden_global_offset_z
      - .offset:         200
        .size:           2
        .value_kind:     hidden_grid_dims
    .group_segment_fixed_size: 8192
    .kernarg_segment_align: 8
    .kernarg_segment_size: 392
    .language:       OpenCL C
    .language_version:
      - 2
      - 0
    .max_flat_workgroup_size: 1024
    .name:           _ZL20rocblas_hbmvn_kernelILi64ELi16E19rocblas_complex_numIfEPKPKS1_PKPS1_EvbiiT1_T2_lllSA_lllS9_T3_llli
    .private_segment_fixed_size: 0
    .sgpr_count:     39
    .sgpr_spill_count: 0
    .symbol:         _ZL20rocblas_hbmvn_kernelILi64ELi16E19rocblas_complex_numIfEPKPKS1_PKPS1_EvbiiT1_T2_lllSA_lllS9_T3_llli.kd
    .uniform_work_group_size: 1
    .uses_dynamic_stack: false
    .vgpr_count:     23
    .vgpr_spill_count: 0
    .wavefront_size: 32
    .workgroup_processor_mode: 1
  - .args:
      - .offset:         0
        .size:           1
        .value_kind:     by_value
      - .offset:         4
        .size:           4
        .value_kind:     by_value
      - .offset:         8
        .size:           4
        .value_kind:     by_value
      - .address_space:  global
        .offset:         16
        .size:           8
        .value_kind:     global_buffer
      - .address_space:  global
        .offset:         24
        .size:           8
        .value_kind:     global_buffer
      - .offset:         32
        .size:           8
        .value_kind:     by_value
      - .offset:         40
        .size:           8
        .value_kind:     by_value
      - .offset:         48
        .size:           8
        .value_kind:     by_value
      - .address_space:  global
        .offset:         56
        .size:           8
        .value_kind:     global_buffer
      - .offset:         64
        .size:           8
        .value_kind:     by_value
      - .offset:         72
        .size:           8
        .value_kind:     by_value
      - .offset:         80
        .size:           8
        .value_kind:     by_value
      - .address_space:  global
        .offset:         88
        .size:           8
        .value_kind:     global_buffer
      - .address_space:  global
        .offset:         96
        .size:           8
        .value_kind:     global_buffer
      - .offset:         104
        .size:           8
        .value_kind:     by_value
      - .offset:         112
        .size:           8
        .value_kind:     by_value
      - .offset:         120
        .size:           8
        .value_kind:     by_value
      - .offset:         128
        .size:           4
        .value_kind:     by_value
      - .offset:         136
        .size:           4
        .value_kind:     hidden_block_count_x
      - .offset:         140
        .size:           4
        .value_kind:     hidden_block_count_y
      - .offset:         144
        .size:           4
        .value_kind:     hidden_block_count_z
      - .offset:         148
        .size:           2
        .value_kind:     hidden_group_size_x
      - .offset:         150
        .size:           2
        .value_kind:     hidden_group_size_y
      - .offset:         152
        .size:           2
        .value_kind:     hidden_group_size_z
      - .offset:         154
        .size:           2
        .value_kind:     hidden_remainder_x
      - .offset:         156
        .size:           2
        .value_kind:     hidden_remainder_y
      - .offset:         158
        .size:           2
        .value_kind:     hidden_remainder_z
      - .offset:         176
        .size:           8
        .value_kind:     hidden_global_offset_x
      - .offset:         184
        .size:           8
        .value_kind:     hidden_global_offset_y
      - .offset:         192
        .size:           8
        .value_kind:     hidden_global_offset_z
      - .offset:         200
        .size:           2
        .value_kind:     hidden_grid_dims
    .group_segment_fixed_size: 16384
    .kernarg_segment_align: 8
    .kernarg_segment_size: 392
    .language:       OpenCL C
    .language_version:
      - 2
      - 0
    .max_flat_workgroup_size: 1024
    .name:           _ZL20rocblas_hbmvn_kernelILi64ELi16EPK19rocblas_complex_numIdEPKS3_PKPS1_EvbiiT1_T2_lllSA_lllS9_T3_llli
    .private_segment_fixed_size: 0
    .sgpr_count:     43
    .sgpr_spill_count: 0
    .symbol:         _ZL20rocblas_hbmvn_kernelILi64ELi16EPK19rocblas_complex_numIdEPKS3_PKPS1_EvbiiT1_T2_lllSA_lllS9_T3_llli.kd
    .uniform_work_group_size: 1
    .uses_dynamic_stack: false
    .vgpr_count:     31
    .vgpr_spill_count: 0
    .wavefront_size: 32
    .workgroup_processor_mode: 1
  - .args:
      - .offset:         0
        .size:           1
        .value_kind:     by_value
      - .offset:         4
        .size:           4
        .value_kind:     by_value
      - .offset:         8
        .size:           4
        .value_kind:     by_value
      - .offset:         16
        .size:           16
        .value_kind:     by_value
      - .address_space:  global
        .offset:         32
        .size:           8
        .value_kind:     global_buffer
      - .offset:         40
        .size:           8
        .value_kind:     by_value
      - .offset:         48
        .size:           8
        .value_kind:     by_value
      - .offset:         56
        .size:           8
        .value_kind:     by_value
      - .address_space:  global
        .offset:         64
        .size:           8
        .value_kind:     global_buffer
      - .offset:         72
        .size:           8
        .value_kind:     by_value
      - .offset:         80
        .size:           8
        .value_kind:     by_value
      - .offset:         88
        .size:           8
        .value_kind:     by_value
      - .offset:         96
        .size:           16
        .value_kind:     by_value
      - .address_space:  global
        .offset:         112
        .size:           8
        .value_kind:     global_buffer
      - .offset:         120
        .size:           8
        .value_kind:     by_value
      - .offset:         128
        .size:           8
        .value_kind:     by_value
      - .offset:         136
        .size:           8
        .value_kind:     by_value
      - .offset:         144
        .size:           4
        .value_kind:     by_value
      - .offset:         152
        .size:           4
        .value_kind:     hidden_block_count_x
      - .offset:         156
        .size:           4
        .value_kind:     hidden_block_count_y
      - .offset:         160
        .size:           4
        .value_kind:     hidden_block_count_z
      - .offset:         164
        .size:           2
        .value_kind:     hidden_group_size_x
      - .offset:         166
        .size:           2
        .value_kind:     hidden_group_size_y
      - .offset:         168
        .size:           2
        .value_kind:     hidden_group_size_z
      - .offset:         170
        .size:           2
        .value_kind:     hidden_remainder_x
      - .offset:         172
        .size:           2
        .value_kind:     hidden_remainder_y
      - .offset:         174
        .size:           2
        .value_kind:     hidden_remainder_z
      - .offset:         192
        .size:           8
        .value_kind:     hidden_global_offset_x
      - .offset:         200
        .size:           8
        .value_kind:     hidden_global_offset_y
      - .offset:         208
        .size:           8
        .value_kind:     hidden_global_offset_z
      - .offset:         216
        .size:           2
        .value_kind:     hidden_grid_dims
    .group_segment_fixed_size: 16384
    .kernarg_segment_align: 8
    .kernarg_segment_size: 408
    .language:       OpenCL C
    .language_version:
      - 2
      - 0
    .max_flat_workgroup_size: 1024
    .name:           _ZL20rocblas_hbmvn_kernelILi64ELi16E19rocblas_complex_numIdEPKPKS1_PKPS1_EvbiiT1_T2_lllSA_lllS9_T3_llli
    .private_segment_fixed_size: 0
    .sgpr_count:     43
    .sgpr_spill_count: 0
    .symbol:         _ZL20rocblas_hbmvn_kernelILi64ELi16E19rocblas_complex_numIdEPKPKS1_PKPS1_EvbiiT1_T2_lllSA_lllS9_T3_llli.kd
    .uniform_work_group_size: 1
    .uses_dynamic_stack: false
    .vgpr_count:     31
    .vgpr_spill_count: 0
    .wavefront_size: 32
    .workgroup_processor_mode: 1
amdhsa.target:   amdgcn-amd-amdhsa--gfx1030
amdhsa.version:
  - 1
  - 2
...

	.end_amdgpu_metadata
